;; amdgpu-corpus repo=ROCm/rocFFT kind=compiled arch=gfx1030 opt=O3
	.text
	.amdgcn_target "amdgcn-amd-amdhsa--gfx1030"
	.amdhsa_code_object_version 6
	.protected	fft_rtc_fwd_len3600_factors_10_10_6_6_wgs_120_tpt_120_halfLds_sp_ip_CI_unitstride_sbrr_C2R_dirReg ; -- Begin function fft_rtc_fwd_len3600_factors_10_10_6_6_wgs_120_tpt_120_halfLds_sp_ip_CI_unitstride_sbrr_C2R_dirReg
	.globl	fft_rtc_fwd_len3600_factors_10_10_6_6_wgs_120_tpt_120_halfLds_sp_ip_CI_unitstride_sbrr_C2R_dirReg
	.p2align	8
	.type	fft_rtc_fwd_len3600_factors_10_10_6_6_wgs_120_tpt_120_halfLds_sp_ip_CI_unitstride_sbrr_C2R_dirReg,@function
fft_rtc_fwd_len3600_factors_10_10_6_6_wgs_120_tpt_120_halfLds_sp_ip_CI_unitstride_sbrr_C2R_dirReg: ; @fft_rtc_fwd_len3600_factors_10_10_6_6_wgs_120_tpt_120_halfLds_sp_ip_CI_unitstride_sbrr_C2R_dirReg
; %bb.0:
	s_clause 0x2
	s_load_dwordx4 s[8:11], s[4:5], 0x0
	s_load_dwordx2 s[2:3], s[4:5], 0x50
	s_load_dwordx2 s[12:13], s[4:5], 0x18
	v_mul_u32_u24_e32 v1, 0x223, v0
	v_mov_b32_e32 v3, 0
	v_add_nc_u32_sdwa v5, s6, v1 dst_sel:DWORD dst_unused:UNUSED_PAD src0_sel:DWORD src1_sel:WORD_1
	v_mov_b32_e32 v1, 0
	v_mov_b32_e32 v6, v3
	v_mov_b32_e32 v2, 0
	s_waitcnt lgkmcnt(0)
	v_cmp_lt_u64_e64 s0, s[10:11], 2
	s_and_b32 vcc_lo, exec_lo, s0
	s_cbranch_vccnz .LBB0_8
; %bb.1:
	s_load_dwordx2 s[0:1], s[4:5], 0x10
	v_mov_b32_e32 v1, 0
	s_add_u32 s6, s12, 8
	v_mov_b32_e32 v2, 0
	s_addc_u32 s7, s13, 0
	s_mov_b64 s[16:17], 1
	s_waitcnt lgkmcnt(0)
	s_add_u32 s14, s0, 8
	s_addc_u32 s15, s1, 0
.LBB0_2:                                ; =>This Inner Loop Header: Depth=1
	s_load_dwordx2 s[18:19], s[14:15], 0x0
                                        ; implicit-def: $vgpr7_vgpr8
	s_mov_b32 s0, exec_lo
	s_waitcnt lgkmcnt(0)
	v_or_b32_e32 v4, s19, v6
	v_cmpx_ne_u64_e32 0, v[3:4]
	s_xor_b32 s1, exec_lo, s0
	s_cbranch_execz .LBB0_4
; %bb.3:                                ;   in Loop: Header=BB0_2 Depth=1
	v_cvt_f32_u32_e32 v4, s18
	v_cvt_f32_u32_e32 v7, s19
	s_sub_u32 s0, 0, s18
	s_subb_u32 s20, 0, s19
	v_fmac_f32_e32 v4, 0x4f800000, v7
	v_rcp_f32_e32 v4, v4
	v_mul_f32_e32 v4, 0x5f7ffffc, v4
	v_mul_f32_e32 v7, 0x2f800000, v4
	v_trunc_f32_e32 v7, v7
	v_fmac_f32_e32 v4, 0xcf800000, v7
	v_cvt_u32_f32_e32 v7, v7
	v_cvt_u32_f32_e32 v4, v4
	v_mul_lo_u32 v8, s0, v7
	v_mul_hi_u32 v9, s0, v4
	v_mul_lo_u32 v10, s20, v4
	v_add_nc_u32_e32 v8, v9, v8
	v_mul_lo_u32 v9, s0, v4
	v_add_nc_u32_e32 v8, v8, v10
	v_mul_hi_u32 v10, v4, v9
	v_mul_lo_u32 v11, v4, v8
	v_mul_hi_u32 v12, v4, v8
	v_mul_hi_u32 v13, v7, v9
	v_mul_lo_u32 v9, v7, v9
	v_mul_hi_u32 v14, v7, v8
	v_mul_lo_u32 v8, v7, v8
	v_add_co_u32 v10, vcc_lo, v10, v11
	v_add_co_ci_u32_e32 v11, vcc_lo, 0, v12, vcc_lo
	v_add_co_u32 v9, vcc_lo, v10, v9
	v_add_co_ci_u32_e32 v9, vcc_lo, v11, v13, vcc_lo
	v_add_co_ci_u32_e32 v10, vcc_lo, 0, v14, vcc_lo
	v_add_co_u32 v8, vcc_lo, v9, v8
	v_add_co_ci_u32_e32 v9, vcc_lo, 0, v10, vcc_lo
	v_add_co_u32 v4, vcc_lo, v4, v8
	v_add_co_ci_u32_e32 v7, vcc_lo, v7, v9, vcc_lo
	v_mul_hi_u32 v8, s0, v4
	v_mul_lo_u32 v10, s20, v4
	v_mul_lo_u32 v9, s0, v7
	v_add_nc_u32_e32 v8, v8, v9
	v_mul_lo_u32 v9, s0, v4
	v_add_nc_u32_e32 v8, v8, v10
	v_mul_hi_u32 v10, v4, v9
	v_mul_lo_u32 v11, v4, v8
	v_mul_hi_u32 v12, v4, v8
	v_mul_hi_u32 v13, v7, v9
	v_mul_lo_u32 v9, v7, v9
	v_mul_hi_u32 v14, v7, v8
	v_mul_lo_u32 v8, v7, v8
	v_add_co_u32 v10, vcc_lo, v10, v11
	v_add_co_ci_u32_e32 v11, vcc_lo, 0, v12, vcc_lo
	v_add_co_u32 v9, vcc_lo, v10, v9
	v_add_co_ci_u32_e32 v9, vcc_lo, v11, v13, vcc_lo
	v_add_co_ci_u32_e32 v10, vcc_lo, 0, v14, vcc_lo
	v_add_co_u32 v8, vcc_lo, v9, v8
	v_add_co_ci_u32_e32 v9, vcc_lo, 0, v10, vcc_lo
	v_add_co_u32 v4, vcc_lo, v4, v8
	v_add_co_ci_u32_e32 v11, vcc_lo, v7, v9, vcc_lo
	v_mul_hi_u32 v13, v5, v4
	v_mad_u64_u32 v[9:10], null, v6, v4, 0
	v_mad_u64_u32 v[7:8], null, v5, v11, 0
	;; [unrolled: 1-line block ×3, first 2 shown]
	v_add_co_u32 v4, vcc_lo, v13, v7
	v_add_co_ci_u32_e32 v7, vcc_lo, 0, v8, vcc_lo
	v_add_co_u32 v4, vcc_lo, v4, v9
	v_add_co_ci_u32_e32 v4, vcc_lo, v7, v10, vcc_lo
	v_add_co_ci_u32_e32 v7, vcc_lo, 0, v12, vcc_lo
	v_add_co_u32 v4, vcc_lo, v4, v11
	v_add_co_ci_u32_e32 v9, vcc_lo, 0, v7, vcc_lo
	v_mul_lo_u32 v10, s19, v4
	v_mad_u64_u32 v[7:8], null, s18, v4, 0
	v_mul_lo_u32 v11, s18, v9
	v_sub_co_u32 v7, vcc_lo, v5, v7
	v_add3_u32 v8, v8, v11, v10
	v_sub_nc_u32_e32 v10, v6, v8
	v_subrev_co_ci_u32_e64 v10, s0, s19, v10, vcc_lo
	v_add_co_u32 v11, s0, v4, 2
	v_add_co_ci_u32_e64 v12, s0, 0, v9, s0
	v_sub_co_u32 v13, s0, v7, s18
	v_sub_co_ci_u32_e32 v8, vcc_lo, v6, v8, vcc_lo
	v_subrev_co_ci_u32_e64 v10, s0, 0, v10, s0
	v_cmp_le_u32_e32 vcc_lo, s18, v13
	v_cmp_eq_u32_e64 s0, s19, v8
	v_cndmask_b32_e64 v13, 0, -1, vcc_lo
	v_cmp_le_u32_e32 vcc_lo, s19, v10
	v_cndmask_b32_e64 v14, 0, -1, vcc_lo
	v_cmp_le_u32_e32 vcc_lo, s18, v7
	;; [unrolled: 2-line block ×3, first 2 shown]
	v_cndmask_b32_e64 v15, 0, -1, vcc_lo
	v_cmp_eq_u32_e32 vcc_lo, s19, v10
	v_cndmask_b32_e64 v7, v15, v7, s0
	v_cndmask_b32_e32 v10, v14, v13, vcc_lo
	v_add_co_u32 v13, vcc_lo, v4, 1
	v_add_co_ci_u32_e32 v14, vcc_lo, 0, v9, vcc_lo
	v_cmp_ne_u32_e32 vcc_lo, 0, v10
	v_cndmask_b32_e32 v8, v14, v12, vcc_lo
	v_cndmask_b32_e32 v10, v13, v11, vcc_lo
	v_cmp_ne_u32_e32 vcc_lo, 0, v7
	v_cndmask_b32_e32 v8, v9, v8, vcc_lo
	v_cndmask_b32_e32 v7, v4, v10, vcc_lo
.LBB0_4:                                ;   in Loop: Header=BB0_2 Depth=1
	s_andn2_saveexec_b32 s0, s1
	s_cbranch_execz .LBB0_6
; %bb.5:                                ;   in Loop: Header=BB0_2 Depth=1
	v_cvt_f32_u32_e32 v4, s18
	s_sub_i32 s1, 0, s18
	v_rcp_iflag_f32_e32 v4, v4
	v_mul_f32_e32 v4, 0x4f7ffffe, v4
	v_cvt_u32_f32_e32 v4, v4
	v_mul_lo_u32 v7, s1, v4
	v_mul_hi_u32 v7, v4, v7
	v_add_nc_u32_e32 v4, v4, v7
	v_mul_hi_u32 v4, v5, v4
	v_mul_lo_u32 v7, v4, s18
	v_add_nc_u32_e32 v8, 1, v4
	v_sub_nc_u32_e32 v7, v5, v7
	v_subrev_nc_u32_e32 v9, s18, v7
	v_cmp_le_u32_e32 vcc_lo, s18, v7
	v_cndmask_b32_e32 v7, v7, v9, vcc_lo
	v_cndmask_b32_e32 v4, v4, v8, vcc_lo
	v_cmp_le_u32_e32 vcc_lo, s18, v7
	v_add_nc_u32_e32 v8, 1, v4
	v_cndmask_b32_e32 v7, v4, v8, vcc_lo
	v_mov_b32_e32 v8, v3
.LBB0_6:                                ;   in Loop: Header=BB0_2 Depth=1
	s_or_b32 exec_lo, exec_lo, s0
	s_load_dwordx2 s[0:1], s[6:7], 0x0
	v_mul_lo_u32 v4, v8, s18
	v_mul_lo_u32 v11, v7, s19
	v_mad_u64_u32 v[9:10], null, v7, s18, 0
	s_add_u32 s16, s16, 1
	s_addc_u32 s17, s17, 0
	s_add_u32 s6, s6, 8
	s_addc_u32 s7, s7, 0
	;; [unrolled: 2-line block ×3, first 2 shown]
	v_add3_u32 v4, v10, v11, v4
	v_sub_co_u32 v5, vcc_lo, v5, v9
	v_sub_co_ci_u32_e32 v4, vcc_lo, v6, v4, vcc_lo
	s_waitcnt lgkmcnt(0)
	v_mul_lo_u32 v6, s1, v5
	v_mul_lo_u32 v4, s0, v4
	v_mad_u64_u32 v[1:2], null, s0, v5, v[1:2]
	v_cmp_ge_u64_e64 s0, s[16:17], s[10:11]
	s_and_b32 vcc_lo, exec_lo, s0
	v_add3_u32 v2, v6, v2, v4
	s_cbranch_vccnz .LBB0_9
; %bb.7:                                ;   in Loop: Header=BB0_2 Depth=1
	v_mov_b32_e32 v5, v7
	v_mov_b32_e32 v6, v8
	s_branch .LBB0_2
.LBB0_8:
	v_mov_b32_e32 v8, v6
	v_mov_b32_e32 v7, v5
.LBB0_9:
	s_lshl_b64 s[0:1], s[10:11], 3
	v_mul_hi_u32 v5, 0x2222223, v0
	s_add_u32 s0, s12, s0
	s_addc_u32 s1, s13, s1
	s_load_dwordx2 s[0:1], s[0:1], 0x0
	s_load_dwordx2 s[4:5], s[4:5], 0x20
	s_waitcnt lgkmcnt(0)
	v_mul_lo_u32 v3, s0, v8
	v_mul_lo_u32 v4, s1, v7
	v_mad_u64_u32 v[1:2], null, s0, v7, v[1:2]
	v_cmp_gt_u64_e32 vcc_lo, s[4:5], v[7:8]
	v_add3_u32 v2, v4, v2, v3
	v_mul_u32_u24_e32 v3, 0x78, v5
	v_lshlrev_b64 v[58:59], 3, v[1:2]
	v_sub_nc_u32_e32 v56, v0, v3
	s_and_saveexec_b32 s1, vcc_lo
	s_cbranch_execz .LBB0_13
; %bb.10:
	v_mov_b32_e32 v57, 0
	v_add_co_u32 v0, s0, s2, v58
	v_add_co_ci_u32_e64 v1, s0, s3, v59, s0
	v_lshlrev_b64 v[2:3], 3, v[56:57]
	v_or_b32_e32 v4, 0x780, v56
	v_mov_b32_e32 v5, v57
	v_lshl_add_u32 v66, v56, 3, 0
	v_add_co_u32 v2, s0, v0, v2
	v_add_co_ci_u32_e64 v3, s0, v1, v3, s0
	v_lshlrev_b64 v[4:5], 3, v[4:5]
	v_add_co_u32 v6, s0, 0x800, v2
	v_add_co_ci_u32_e64 v7, s0, 0, v3, s0
	v_add_co_u32 v8, s0, 0x1000, v2
	v_add_co_ci_u32_e64 v9, s0, 0, v3, s0
	;; [unrolled: 2-line block ×13, first 2 shown]
	s_clause 0x3
	global_load_dwordx2 v[10:11], v[2:3], off
	global_load_dwordx2 v[12:13], v[6:7], off offset:832
	global_load_dwordx2 v[14:15], v[2:3], off offset:1920
	;; [unrolled: 1-line block ×3, first 2 shown]
	v_add_co_u32 v2, s0, 0x6800, v2
	v_add_co_ci_u32_e64 v3, s0, 0, v3, s0
	s_clause 0x19
	global_load_dwordx2 v[6:7], v[6:7], off offset:1792
	global_load_dwordx2 v[38:39], v[8:9], off offset:704
	;; [unrolled: 1-line block ×14, first 2 shown]
	global_load_dwordx2 v[4:5], v[4:5], off
	global_load_dwordx2 v[26:27], v[26:27], off offset:1984
	global_load_dwordx2 v[52:53], v[30:31], off offset:768
	;; [unrolled: 1-line block ×11, first 2 shown]
	v_cmp_eq_u32_e64 s0, 0x77, v56
	v_add_nc_u32_e32 v67, 0x400, v66
	v_add_nc_u32_e32 v68, 0xc00, v66
	;; [unrolled: 1-line block ×14, first 2 shown]
	s_waitcnt vmcnt(27)
	ds_write2_b64 v67, v[14:15], v[12:13] offset0:112 offset1:232
	s_waitcnt vmcnt(24)
	ds_write2_b64 v68, v[6:7], v[38:39] offset0:96 offset1:216
	;; [unrolled: 2-line block ×4, first 2 shown]
	ds_write2_b64 v66, v[10:11], v[16:17] offset1:120
	s_waitcnt vmcnt(18)
	ds_write2_b64 v71, v[20:21], v[44:45] offset0:48 offset1:168
	s_waitcnt vmcnt(16)
	ds_write2_b64 v72, v[22:23], v[46:47] offset0:32 offset1:152
	;; [unrolled: 2-line block ×4, first 2 shown]
	ds_write2_b64 v75, v[28:29], v[50:51] offset0:112 offset1:232
	s_waitcnt vmcnt(8)
	ds_write2_b64 v76, v[52:53], v[30:31] offset0:96 offset1:216
	s_waitcnt vmcnt(6)
	;; [unrolled: 2-line block ×5, first 2 shown]
	ds_write2_b64 v80, v[64:65], v[2:3] offset0:32 offset1:152
	s_and_saveexec_b32 s4, s0
	s_cbranch_execz .LBB0_12
; %bb.11:
	v_add_co_u32 v0, s0, 0x7000, v0
	v_add_co_ci_u32_e64 v1, s0, 0, v1, s0
	v_mov_b32_e32 v56, 0x77
	global_load_dwordx2 v[0:1], v[0:1], off offset:128
	s_waitcnt vmcnt(0)
	ds_write_b64 v57, v[0:1] offset:28800
.LBB0_12:
	s_or_b32 exec_lo, exec_lo, s4
.LBB0_13:
	s_or_b32 exec_lo, exec_lo, s1
	v_lshlrev_b32_e32 v0, 3, v56
	s_waitcnt lgkmcnt(0)
	s_barrier
	buffer_gl0_inv
	s_add_u32 s1, s8, 0x7030
	v_add_nc_u32_e32 v64, 0, v0
	v_sub_nc_u32_e32 v4, 0, v0
	s_addc_u32 s4, s9, 0
	s_mov_b32 s5, exec_lo
                                        ; implicit-def: $vgpr2_vgpr3
	ds_read_b32 v5, v64
	ds_read_b32 v6, v4 offset:28800
	s_waitcnt lgkmcnt(0)
	v_add_f32_e32 v0, v6, v5
	v_sub_f32_e32 v1, v5, v6
	v_cmpx_ne_u32_e32 0, v56
	s_xor_b32 s5, exec_lo, s5
	s_cbranch_execz .LBB0_15
; %bb.14:
	v_mov_b32_e32 v57, 0
	v_add_f32_e32 v7, v6, v5
	v_sub_f32_e32 v8, v5, v6
	v_lshlrev_b64 v[0:1], 3, v[56:57]
	v_add_co_u32 v0, s0, s1, v0
	v_add_co_ci_u32_e64 v1, s0, s4, v1, s0
	global_load_dwordx2 v[2:3], v[0:1], off
	ds_read_b32 v0, v4 offset:28804
	ds_read_b32 v1, v64 offset:4
	s_waitcnt lgkmcnt(0)
	v_add_f32_e32 v9, v0, v1
	v_sub_f32_e32 v0, v1, v0
	s_waitcnt vmcnt(0)
	v_fma_f32 v5, -v8, v3, v7
	v_fma_f32 v6, v9, v3, -v0
	v_fma_f32 v10, v8, v3, v7
	v_fma_f32 v1, v9, v3, v0
	v_fmac_f32_e32 v5, v2, v9
	v_fmac_f32_e32 v6, v8, v2
	v_fma_f32 v0, -v2, v9, v10
	v_fmac_f32_e32 v1, v8, v2
	v_mov_b32_e32 v2, v56
	v_mov_b32_e32 v3, v57
	ds_write_b64 v4, v[5:6] offset:28800
.LBB0_15:
	s_andn2_saveexec_b32 s0, s5
	s_cbranch_execz .LBB0_17
; %bb.16:
	v_mov_b32_e32 v7, 0
	ds_read_b64 v[2:3], v7 offset:14400
	s_waitcnt lgkmcnt(0)
	v_add_f32_e32 v5, v2, v2
	v_mul_f32_e32 v6, -2.0, v3
	v_mov_b32_e32 v2, 0
	v_mov_b32_e32 v3, 0
	ds_write_b64 v7, v[5:6] offset:14400
.LBB0_17:
	s_or_b32 exec_lo, exec_lo, s0
	v_lshlrev_b64 v[2:3], 3, v[2:3]
	v_add_nc_u32_e32 v67, 0x1400, v64
	v_add_nc_u32_e32 v66, 0x2c00, v64
	;; [unrolled: 1-line block ×5, first 2 shown]
	v_add_co_u32 v2, s0, s1, v2
	v_add_co_ci_u32_e64 v3, s0, s4, v3, s0
	v_add_nc_u32_e32 v69, 0x1c00, v64
	v_add_co_u32 v9, s0, 0x800, v2
	s_clause 0x1
	global_load_dwordx2 v[5:6], v[2:3], off offset:960
	global_load_dwordx2 v[7:8], v[2:3], off offset:1920
	v_add_co_ci_u32_e64 v10, s0, 0, v3, s0
	v_add_co_u32 v13, s0, 0x1000, v2
	s_clause 0x1
	global_load_dwordx2 v[11:12], v[9:10], off offset:832
	global_load_dwordx2 v[9:10], v[9:10], off offset:1792
	v_add_co_ci_u32_e64 v14, s0, 0, v3, s0
	s_clause 0x1
	global_load_dwordx2 v[15:16], v[13:14], off offset:704
	global_load_dwordx2 v[13:14], v[13:14], off offset:1664
	v_add_co_u32 v17, s0, 0x1800, v2
	v_add_co_ci_u32_e64 v18, s0, 0, v3, s0
	ds_write_b64 v64, v[0:1]
	v_add_nc_u32_e32 v68, 0x3400, v64
	v_add_nc_u32_e32 v74, 0x4800, v64
	global_load_dwordx2 v[19:20], v[17:18], off offset:576
	ds_read_b64 v[0:1], v64 offset:960
	ds_read_b64 v[21:22], v4 offset:27840
	global_load_dwordx2 v[17:18], v[17:18], off offset:1536
	v_add_nc_u32_e32 v72, 0x6000, v64
	v_add_nc_u32_e32 v73, 0x2400, v64
	;; [unrolled: 1-line block ×6, first 2 shown]
	s_waitcnt lgkmcnt(0)
	v_add_f32_e32 v23, v0, v21
	v_add_f32_e32 v24, v22, v1
	v_sub_f32_e32 v25, v0, v21
	v_sub_f32_e32 v0, v1, v22
	s_waitcnt vmcnt(7)
	v_fma_f32 v26, v25, v6, v23
	v_fma_f32 v1, v24, v6, v0
	v_fma_f32 v21, -v25, v6, v23
	v_fma_f32 v22, v24, v6, -v0
	v_fma_f32 v0, -v5, v24, v26
	v_fmac_f32_e32 v1, v25, v5
	v_fmac_f32_e32 v21, v5, v24
	;; [unrolled: 1-line block ×3, first 2 shown]
	v_add_co_u32 v5, s0, 0x2000, v2
	v_add_co_ci_u32_e64 v6, s0, 0, v3, s0
	ds_write_b64 v64, v[0:1] offset:960
	ds_write_b64 v4, v[21:22] offset:27840
	ds_read_b64 v[0:1], v64 offset:1920
	ds_read_b64 v[21:22], v4 offset:26880
	global_load_dwordx2 v[23:24], v[5:6], off offset:448
	s_waitcnt lgkmcnt(0)
	v_add_f32_e32 v25, v0, v21
	v_add_f32_e32 v26, v22, v1
	v_sub_f32_e32 v27, v0, v21
	v_sub_f32_e32 v0, v1, v22
	s_waitcnt vmcnt(7)
	v_fma_f32 v28, v27, v8, v25
	v_fma_f32 v1, v26, v8, v0
	v_fma_f32 v21, -v27, v8, v25
	v_fma_f32 v22, v26, v8, -v0
	v_fma_f32 v0, -v7, v26, v28
	v_fmac_f32_e32 v1, v27, v7
	v_fmac_f32_e32 v21, v7, v26
	;; [unrolled: 1-line block ×3, first 2 shown]
	ds_write_b64 v64, v[0:1] offset:1920
	ds_write_b64 v4, v[21:22] offset:26880
	ds_read_b64 v[0:1], v64 offset:2880
	ds_read_b64 v[7:8], v4 offset:25920
	global_load_dwordx2 v[5:6], v[5:6], off offset:1408
	s_waitcnt lgkmcnt(0)
	v_add_f32_e32 v21, v0, v7
	v_add_f32_e32 v22, v8, v1
	v_sub_f32_e32 v25, v0, v7
	v_sub_f32_e32 v0, v1, v8
	s_waitcnt vmcnt(7)
	v_fma_f32 v26, v25, v12, v21
	v_fma_f32 v1, v22, v12, v0
	v_fma_f32 v7, -v25, v12, v21
	v_fma_f32 v8, v22, v12, -v0
	v_fma_f32 v0, -v11, v22, v26
	v_fmac_f32_e32 v1, v25, v11
	v_fmac_f32_e32 v7, v11, v22
	;; [unrolled: 1-line block ×3, first 2 shown]
	v_add_co_u32 v11, s0, 0x2800, v2
	v_add_co_ci_u32_e64 v12, s0, 0, v3, s0
	ds_write_b64 v64, v[0:1] offset:2880
	ds_write_b64 v4, v[7:8] offset:25920
	ds_read_b64 v[0:1], v64 offset:3840
	ds_read_b64 v[7:8], v4 offset:24960
	v_add_co_u32 v2, s0, 0x3000, v2
	global_load_dwordx2 v[21:22], v[11:12], off offset:320
	v_add_co_ci_u32_e64 v3, s0, 0, v3, s0
	v_cmp_gt_u32_e64 s0, 0x64, v56
	s_waitcnt lgkmcnt(0)
	v_add_f32_e32 v25, v0, v7
	v_add_f32_e32 v26, v8, v1
	v_sub_f32_e32 v27, v0, v7
	v_sub_f32_e32 v0, v1, v8
	s_waitcnt vmcnt(7)
	v_fma_f32 v28, v27, v10, v25
	v_fma_f32 v1, v26, v10, v0
	v_fma_f32 v7, -v27, v10, v25
	v_fma_f32 v8, v26, v10, -v0
	v_fma_f32 v0, -v9, v26, v28
	v_fmac_f32_e32 v1, v27, v9
	v_fmac_f32_e32 v7, v9, v26
	v_fmac_f32_e32 v8, v27, v9
	ds_write_b64 v64, v[0:1] offset:3840
	ds_write_b64 v4, v[7:8] offset:24960
	ds_read_b64 v[0:1], v64 offset:4800
	ds_read_b64 v[7:8], v4 offset:24000
	global_load_dwordx2 v[9:10], v[11:12], off offset:1280
	s_waitcnt lgkmcnt(0)
	v_add_f32_e32 v11, v0, v7
	v_add_f32_e32 v12, v8, v1
	v_sub_f32_e32 v25, v0, v7
	v_sub_f32_e32 v0, v1, v8
	s_waitcnt vmcnt(7)
	v_fma_f32 v26, v25, v16, v11
	v_fma_f32 v1, v12, v16, v0
	v_fma_f32 v7, -v25, v16, v11
	v_fma_f32 v8, v12, v16, -v0
	v_fma_f32 v0, -v15, v12, v26
	v_fmac_f32_e32 v1, v25, v15
	v_fmac_f32_e32 v7, v15, v12
	v_fmac_f32_e32 v8, v25, v15
	ds_write_b64 v64, v[0:1] offset:4800
	ds_write_b64 v4, v[7:8] offset:24000
	ds_read_b64 v[0:1], v64 offset:5760
	ds_read_b64 v[7:8], v4 offset:23040
	global_load_dwordx2 v[11:12], v[2:3], off offset:192
	s_waitcnt lgkmcnt(0)
	v_add_f32_e32 v15, v0, v7
	v_add_f32_e32 v16, v8, v1
	v_sub_f32_e32 v25, v0, v7
	v_sub_f32_e32 v0, v1, v8
	s_waitcnt vmcnt(7)
	v_fma_f32 v26, v25, v14, v15
	v_fma_f32 v1, v16, v14, v0
	v_fma_f32 v7, -v25, v14, v15
	v_fma_f32 v8, v16, v14, -v0
	v_fma_f32 v0, -v13, v16, v26
	v_fmac_f32_e32 v1, v25, v13
	v_fmac_f32_e32 v7, v13, v16
	v_fmac_f32_e32 v8, v25, v13
	ds_write_b64 v64, v[0:1] offset:5760
	ds_write_b64 v4, v[7:8] offset:23040
	ds_read_b64 v[0:1], v64 offset:6720
	ds_read_b64 v[7:8], v4 offset:22080
	global_load_dwordx2 v[13:14], v[2:3], off offset:1152
	s_waitcnt lgkmcnt(0)
	v_add_f32_e32 v2, v0, v7
	v_add_f32_e32 v15, v8, v1
	v_sub_f32_e32 v7, v0, v7
	v_sub_f32_e32 v0, v1, v8
	s_waitcnt vmcnt(7)
	v_fma_f32 v8, v7, v20, v2
	v_fma_f32 v1, v15, v20, v0
	v_fma_f32 v2, -v7, v20, v2
	v_fma_f32 v3, v15, v20, -v0
	v_fma_f32 v0, -v19, v15, v8
	v_fmac_f32_e32 v1, v7, v19
	v_fmac_f32_e32 v2, v19, v15
	v_fmac_f32_e32 v3, v7, v19
	ds_write_b64 v64, v[0:1] offset:6720
	ds_write_b64 v4, v[2:3] offset:22080
	ds_read_b64 v[0:1], v64 offset:7680
	ds_read_b64 v[2:3], v4 offset:21120
	s_waitcnt lgkmcnt(0)
	v_add_f32_e32 v7, v0, v2
	v_add_f32_e32 v8, v3, v1
	v_sub_f32_e32 v15, v0, v2
	v_sub_f32_e32 v0, v1, v3
	s_waitcnt vmcnt(6)
	v_fma_f32 v16, v15, v18, v7
	v_fma_f32 v1, v8, v18, v0
	v_fma_f32 v2, -v15, v18, v7
	v_fma_f32 v3, v8, v18, -v0
	v_fma_f32 v0, -v17, v8, v16
	v_fmac_f32_e32 v1, v15, v17
	v_fmac_f32_e32 v2, v17, v8
	v_fmac_f32_e32 v3, v15, v17
	ds_write_b64 v64, v[0:1] offset:7680
	ds_write_b64 v4, v[2:3] offset:21120
	ds_read_b64 v[0:1], v64 offset:8640
	ds_read_b64 v[2:3], v4 offset:20160
	s_waitcnt lgkmcnt(0)
	v_add_f32_e32 v7, v0, v2
	v_add_f32_e32 v8, v3, v1
	v_sub_f32_e32 v15, v0, v2
	v_sub_f32_e32 v0, v1, v3
	s_waitcnt vmcnt(5)
	v_fma_f32 v16, v15, v24, v7
	v_fma_f32 v1, v8, v24, v0
	v_fma_f32 v2, -v15, v24, v7
	v_fma_f32 v3, v8, v24, -v0
	v_fma_f32 v0, -v23, v8, v16
	v_fmac_f32_e32 v1, v15, v23
	v_fmac_f32_e32 v2, v23, v8
	v_fmac_f32_e32 v3, v15, v23
	ds_write_b64 v64, v[0:1] offset:8640
	ds_write_b64 v4, v[2:3] offset:20160
	ds_read_b64 v[0:1], v64 offset:9600
	ds_read_b64 v[2:3], v4 offset:19200
	s_waitcnt lgkmcnt(0)
	v_add_f32_e32 v7, v0, v2
	v_add_f32_e32 v8, v3, v1
	v_sub_f32_e32 v15, v0, v2
	v_sub_f32_e32 v0, v1, v3
	s_waitcnt vmcnt(4)
	v_fma_f32 v16, v15, v6, v7
	v_fma_f32 v1, v8, v6, v0
	v_fma_f32 v2, -v15, v6, v7
	v_fma_f32 v3, v8, v6, -v0
	v_fma_f32 v0, -v5, v8, v16
	v_fmac_f32_e32 v1, v15, v5
	v_fmac_f32_e32 v2, v5, v8
	v_fmac_f32_e32 v3, v15, v5
	ds_write_b64 v64, v[0:1] offset:9600
	ds_write_b64 v4, v[2:3] offset:19200
	ds_read_b64 v[0:1], v64 offset:10560
	ds_read_b64 v[2:3], v4 offset:18240
	s_waitcnt lgkmcnt(0)
	v_add_f32_e32 v5, v0, v2
	v_add_f32_e32 v6, v3, v1
	v_sub_f32_e32 v7, v0, v2
	v_sub_f32_e32 v0, v1, v3
	s_waitcnt vmcnt(3)
	v_fma_f32 v8, v7, v22, v5
	v_fma_f32 v1, v6, v22, v0
	v_fma_f32 v2, -v7, v22, v5
	v_fma_f32 v3, v6, v22, -v0
	v_fma_f32 v0, -v21, v6, v8
	v_fmac_f32_e32 v1, v7, v21
	v_fmac_f32_e32 v2, v21, v6
	v_fmac_f32_e32 v3, v7, v21
	ds_write_b64 v64, v[0:1] offset:10560
	ds_write_b64 v4, v[2:3] offset:18240
	ds_read_b64 v[0:1], v64 offset:11520
	ds_read_b64 v[2:3], v4 offset:17280
	s_waitcnt lgkmcnt(0)
	v_add_f32_e32 v5, v0, v2
	v_add_f32_e32 v6, v3, v1
	v_sub_f32_e32 v7, v0, v2
	v_sub_f32_e32 v0, v1, v3
	s_waitcnt vmcnt(2)
	v_fma_f32 v8, v7, v10, v5
	v_fma_f32 v1, v6, v10, v0
	v_fma_f32 v2, -v7, v10, v5
	v_fma_f32 v3, v6, v10, -v0
	v_fma_f32 v0, -v9, v6, v8
	v_fmac_f32_e32 v1, v7, v9
	v_fmac_f32_e32 v2, v9, v6
	v_fmac_f32_e32 v3, v7, v9
	ds_write_b64 v64, v[0:1] offset:11520
	ds_write_b64 v4, v[2:3] offset:17280
	ds_read_b64 v[0:1], v64 offset:12480
	ds_read_b64 v[2:3], v4 offset:16320
	s_waitcnt lgkmcnt(0)
	v_add_f32_e32 v5, v0, v2
	v_add_f32_e32 v6, v3, v1
	v_sub_f32_e32 v7, v0, v2
	v_sub_f32_e32 v0, v1, v3
	s_waitcnt vmcnt(1)
	v_fma_f32 v8, v7, v12, v5
	v_fma_f32 v1, v6, v12, v0
	v_fma_f32 v2, -v7, v12, v5
	v_fma_f32 v3, v6, v12, -v0
	v_fma_f32 v0, -v11, v6, v8
	v_fmac_f32_e32 v1, v7, v11
	v_fmac_f32_e32 v2, v11, v6
	v_fmac_f32_e32 v3, v7, v11
	ds_write_b64 v64, v[0:1] offset:12480
	ds_write_b64 v4, v[2:3] offset:16320
	ds_read_b64 v[0:1], v64 offset:13440
	ds_read_b64 v[2:3], v4 offset:15360
	s_waitcnt lgkmcnt(0)
	v_add_f32_e32 v5, v0, v2
	v_add_f32_e32 v6, v3, v1
	v_sub_f32_e32 v7, v0, v2
	v_sub_f32_e32 v1, v1, v3
	s_waitcnt vmcnt(0)
	v_fma_f32 v2, v7, v14, v5
	v_fma_f32 v3, v6, v14, v1
	v_fma_f32 v0, -v7, v14, v5
	v_fma_f32 v1, v6, v14, -v1
	v_fma_f32 v2, -v13, v6, v2
	v_fmac_f32_e32 v3, v7, v13
	v_fmac_f32_e32 v0, v13, v6
	;; [unrolled: 1-line block ×3, first 2 shown]
	ds_write_b64 v64, v[2:3] offset:13440
	ds_write_b64 v4, v[0:1] offset:15360
	s_waitcnt lgkmcnt(0)
	s_barrier
	buffer_gl0_inv
	s_barrier
	buffer_gl0_inv
	ds_read2_b64 v[25:28], v67 offset0:80 offset1:200
	ds_read2_b64 v[92:95], v66 offset0:32 offset1:152
	;; [unrolled: 1-line block ×4, first 2 shown]
	ds_read2_b64 v[0:3], v64 offset1:120
	ds_read2_b64 v[4:7], v70 offset0:112 offset1:232
	ds_read2_b64 v[38:41], v69 offset0:64 offset1:184
	;; [unrolled: 1-line block ×10, first 2 shown]
	s_waitcnt lgkmcnt(0)
	s_barrier
	buffer_gl0_inv
	v_add_f32_e32 v45, v7, v41
	v_add_f32_e32 v47, v4, v38
	;; [unrolled: 1-line block ×3, first 2 shown]
	v_sub_f32_e32 v91, v39, v140
	v_sub_f32_e32 v79, v140, v39
	;; [unrolled: 1-line block ×3, first 2 shown]
	v_add_f32_e32 v159, v39, v17
	v_add_f32_e32 v32, v2, v27
	;; [unrolled: 1-line block ×10, first 2 shown]
	v_sub_f32_e32 v131, v27, v94
	v_sub_f32_e32 v132, v137, v103
	;; [unrolled: 1-line block ×3, first 2 shown]
	v_add_f32_e32 v52, v95, v104
	v_sub_f32_e32 v21, v95, v104
	v_add_f32_e32 v78, v28, v138
	v_sub_f32_e32 v105, v95, v28
	v_sub_f32_e32 v106, v104, v138
	v_add_f32_e32 v37, v139, v143
	v_sub_f32_e32 v83, v38, v139
	v_sub_f32_e32 v49, v139, v38
	;; [unrolled: 1-line block ×5, first 2 shown]
	v_add_f32_e32 v33, v33, v95
	v_add_f32_e32 v35, v35, v92
	;; [unrolled: 1-line block ×5, first 2 shown]
	v_sub_f32_e32 v139, v151, v147
	v_add_f32_e32 v95, v45, v143
	v_add_f32_e32 v54, v54, v154
	v_sub_f32_e32 v143, v155, v12
	v_sub_f32_e32 v120, v138, v104
	;; [unrolled: 1-line block ×5, first 2 shown]
	v_add_f32_e32 v30, v27, v137
	v_add_f32_e32 v55, v92, v101
	v_sub_f32_e32 v121, v25, v92
	v_sub_f32_e32 v114, v92, v25
	;; [unrolled: 1-line block ×3, first 2 shown]
	v_add_f32_e32 v62, v25, v135
	v_sub_f32_e32 v44, v25, v135
	v_add_f32_e32 v42, v6, v40
	v_sub_f32_e32 v25, v140, v144
	;; [unrolled: 2-line block ×3, first 2 shown]
	v_sub_f32_e32 v160, v144, v17
	v_add_f32_e32 v33, v33, v104
	v_add_f32_e32 v90, v35, v101
	;; [unrolled: 1-line block ×4, first 2 shown]
	v_sub_f32_e32 v140, v152, v148
	v_add_f32_e32 v35, v32, v137
	v_sub_f32_e32 v137, v153, v149
	v_add_f32_e32 v88, v88, v152
	v_add_f32_e32 v104, v54, v158
	v_sub_f32_e32 v54, v157, v14
	v_sub_f32_e32 v144, v156, v13
	v_fma_f32 v52, -0.5, v52, v3
	v_fmac_f32_e32 v3, -0.5, v78
	v_add_f32_e32 v106, v105, v106
	v_add_f32_e32 v105, v139, v143
	v_add_nc_u32_e32 v78, 0xf0, v56
	v_and_b32_e32 v139, 0xff, v56
	v_add_f32_e32 v131, v131, v132
	v_mov_b32_e32 v132, 0xcccd
	v_sub_f32_e32 v51, v94, v27
	v_sub_f32_e32 v27, v93, v102
	v_add_f32_e32 v61, v93, v102
	v_sub_f32_e32 v122, v26, v93
	v_sub_f32_e32 v113, v93, v26
	;; [unrolled: 1-line block ×3, first 2 shown]
	v_add_f32_e32 v63, v26, v136
	v_sub_f32_e32 v123, v136, v102
	v_sub_f32_e32 v115, v102, v136
	;; [unrolled: 1-line block ×5, first 2 shown]
	v_add_f32_e32 v87, v41, v19
	v_add_f32_e32 v41, v38, v16
	v_sub_f32_e32 v26, v38, v16
	v_add_f32_e32 v85, v8, v147
	v_add_f32_e32 v89, v10, v149
	;; [unrolled: 1-line block ×3, first 2 shown]
	v_sub_f32_e32 v133, v147, v151
	v_add_f32_e32 v36, v33, v138
	v_add_f32_e32 v33, v92, v136
	v_add_f32_e32 v111, v147, v12
	v_add_f32_e32 v112, v148, v13
	v_add_f32_e32 v102, v88, v156
	v_sub_f32_e32 v136, v12, v155
	v_add_f32_e32 v88, v137, v54
	v_add_f32_e32 v137, v140, v144
	;; [unrolled: 1-line block ×3, first 2 shown]
	v_add_nc_u16 v79, v56, 0x78
	v_mul_lo_u16 v139, 0xcd, v139
	v_mul_u32_u24_sdwa v132, v78, v132 dst_sel:DWORD dst_unused:UNUSED_PAD src0_sel:WORD_0 src1_sel:DWORD
	v_sub_f32_e32 v124, v135, v101
	v_sub_f32_e32 v119, v101, v135
	;; [unrolled: 1-line block ×4, first 2 shown]
	v_add_f32_e32 v86, v40, v18
	v_sub_f32_e32 v50, v40, v18
	v_sub_f32_e32 v125, v145, v18
	v_add_f32_e32 v97, v151, v155
	v_sub_f32_e32 v42, v152, v156
	v_add_f32_e32 v98, v152, v156
	;; [unrolled: 2-line block ×3, first 2 shown]
	v_add_f32_e32 v101, v85, v151
	v_add_f32_e32 v89, v89, v153
	;; [unrolled: 1-line block ×4, first 2 shown]
	v_and_b32_e32 v80, 0xff, v79
	v_add_f32_e32 v136, v51, v82
	v_lshrrev_b16 v51, 11, v139
	v_lshrrev_b32_e32 v82, 19, v132
	v_fma_f32 v111, -0.5, v111, v8
	v_fma_f32 v112, -0.5, v112, v9
	v_add_f32_e32 v24, v94, v103
	v_sub_f32_e32 v20, v94, v103
	v_add_f32_e32 v81, v141, v145
	v_sub_f32_e32 v31, v141, v145
	v_sub_f32_e32 v129, v18, v145
	;; [unrolled: 1-line block ×3, first 2 shown]
	v_add_f32_e32 v94, v39, v146
	v_add_f32_e32 v32, v90, v135
	v_sub_f32_e32 v141, v154, v150
	v_sub_f32_e32 v90, v148, v13
	;; [unrolled: 1-line block ×3, first 2 shown]
	v_add_f32_e32 v101, v101, v155
	v_add_f32_e32 v103, v89, v157
	v_sub_f32_e32 v89, v158, v15
	v_add_f32_e32 v116, v116, v125
	v_mul_lo_u16 v125, 0xcd, v80
	v_mul_lo_u16 v132, v51, 10
	v_add_f32_e32 v108, v83, v108
	v_mul_lo_u16 v83, v82, 10
	v_fma_f32 v97, -0.5, v97, v8
	v_fma_f32 v98, -0.5, v98, v9
	;; [unrolled: 1-line block ×4, first 2 shown]
	v_add_f32_e32 v18, v93, v18
	v_add_f32_e32 v16, v95, v16
	v_fmamk_f32 v93, v40, 0x3f737871, v112
	v_fmac_f32_e32 v112, 0xbf737871, v40
	v_fmamk_f32 v95, v42, 0xbf737871, v111
	v_fmac_f32_e32 v111, 0x3f737871, v42
	v_add_f32_e32 v60, v153, v157
	v_add_f32_e32 v85, v149, v14
	v_fma_f32 v55, -0.5, v55, v0
	v_sub_f32_e32 v34, v142, v146
	v_add_f32_e32 v84, v142, v146
	v_sub_f32_e32 v128, v19, v146
	v_sub_f32_e32 v107, v149, v153
	;; [unrolled: 1-line block ×5, first 2 shown]
	v_add_f32_e32 v89, v141, v89
	v_mov_b32_e32 v141, 9
	v_add_f32_e32 v109, v48, v109
	v_lshrrev_b16 v48, 11, v125
	v_add_f32_e32 v100, v49, v100
	v_sub_nc_u16 v49, v56, v132
	v_sub_nc_u16 v83, v78, v83
	v_fma_f32 v61, -0.5, v61, v1
	v_fma_f32 v81, -0.5, v81, v6
	v_fma_f32 v86, -0.5, v86, v6
	v_fma_f32 v87, -0.5, v87, v7
	v_add_f32_e32 v19, v94, v19
	v_add_f32_e32 v17, v96, v17
	v_fmamk_f32 v94, v20, 0x3f737871, v3
	v_fmac_f32_e32 v3, 0xbf737871, v20
	v_fmamk_f32 v96, v90, 0x3f737871, v97
	v_add_f32_e32 v6, v101, v12
	v_add_f32_e32 v101, v103, v14
	v_fmamk_f32 v103, v92, 0xbf737871, v98
	v_fmac_f32_e32 v98, 0x3f737871, v92
	v_fmac_f32_e32 v112, 0x3f167918, v92
	;; [unrolled: 1-line block ×3, first 2 shown]
	v_fmamk_f32 v92, v27, 0xbf737871, v62
	v_fmac_f32_e32 v62, 0x3f737871, v27
	v_fmac_f32_e32 v97, 0xbf737871, v90
	v_fmac_f32_e32 v111, 0xbf167918, v90
	v_fmac_f32_e32 v95, 0x3f167918, v90
	v_fmamk_f32 v90, v28, 0x3f737871, v63
	v_fmac_f32_e32 v63, 0xbf737871, v28
	v_add_f32_e32 v138, v154, v158
	v_add_f32_e32 v142, v150, v15
	v_fmamk_f32 v139, v46, 0x3f737871, v55
	v_fmac_f32_e32 v55, 0xbf737871, v46
	v_fma_f32 v85, -0.5, v85, v10
	v_fma_f32 v10, -0.5, v60, v10
	;; [unrolled: 1-line block ×3, first 2 shown]
	v_sub_f32_e32 v38, v154, v158
	v_add_f32_e32 v91, v91, v99
	v_mul_lo_u16 v99, v48, 10
	v_add_f32_e32 v107, v107, v117
	v_mul_u32_u24_sdwa v117, v49, v141 dst_sel:DWORD dst_unused:UNUSED_PAD src0_sel:BYTE_0 src1_sel:DWORD
	v_add_f32_e32 v110, v110, v118
	v_mul_u32_u24_sdwa v118, v83, v141 dst_sel:DWORD dst_unused:UNUSED_PAD src0_sel:WORD_0 src1_sel:DWORD
	v_fma_f32 v84, -0.5, v84, v7
	v_add_f32_e32 v7, v102, v13
	v_add_f32_e32 v102, v104, v15
	v_fmamk_f32 v104, v43, 0xbf737871, v52
	v_fmac_f32_e32 v52, 0x3f737871, v43
	v_fmac_f32_e32 v3, 0x3f167918, v43
	;; [unrolled: 1-line block ×3, first 2 shown]
	v_fmamk_f32 v43, v44, 0xbf737871, v61
	v_fmac_f32_e32 v92, 0x3f167918, v46
	v_fmac_f32_e32 v62, 0xbf167918, v46
	v_fmamk_f32 v46, v34, 0xbf737871, v86
	v_fmac_f32_e32 v86, 0x3f737871, v34
	v_fmac_f32_e32 v61, 0x3f737871, v44
	;; [unrolled: 1-line block ×4, first 2 shown]
	v_fmamk_f32 v44, v31, 0x3f737871, v87
	v_fmac_f32_e32 v87, 0xbf737871, v31
	v_sub_f32_e32 v39, v153, v157
	v_sub_f32_e32 v47, v150, v15
	;; [unrolled: 1-line block ×3, first 2 shown]
	v_fma_f32 v54, -0.5, v138, v11
	v_fmac_f32_e32 v11, -0.5, v142
	v_fma_f32 v2, -0.5, v30, v2
	v_fmac_f32_e32 v139, 0x3f167918, v27
	v_fmac_f32_e32 v55, 0xbf167918, v27
	v_fmamk_f32 v27, v22, 0x3f737871, v60
	v_fmac_f32_e32 v60, 0xbf737871, v22
	v_fmamk_f32 v132, v53, 0x3f737871, v81
	v_fmac_f32_e32 v81, 0xbf737871, v53
	v_fmac_f32_e32 v46, 0x3f167918, v53
	;; [unrolled: 1-line block ×3, first 2 shown]
	v_fmamk_f32 v53, v50, 0xbf737871, v84
	v_fmac_f32_e32 v84, 0x3f737871, v50
	v_fmac_f32_e32 v44, 0xbf167918, v50
	v_fmac_f32_e32 v87, 0x3f167918, v50
	v_sub_nc_u16 v50, v79, v99
	v_lshlrev_b32_e32 v99, 3, v117
	v_lshlrev_b32_e32 v117, 3, v118
	v_fma_f32 v118, -0.5, v37, v4
	v_fma_f32 v144, -0.5, v41, v4
	v_fmamk_f32 v4, v38, 0xbf737871, v85
	v_fmac_f32_e32 v85, 0x3f737871, v38
	v_sub_f32_e32 v134, v148, v152
	v_sub_f32_e32 v135, v13, v156
	v_fma_f32 v130, -0.5, v130, v5
	v_fmac_f32_e32 v5, -0.5, v159
	v_fmamk_f32 v24, v39, 0x3f737871, v11
	v_fmac_f32_e32 v11, 0xbf737871, v39
	v_fmac_f32_e32 v43, 0xbf167918, v28
	;; [unrolled: 1-line block ×3, first 2 shown]
	v_fmamk_f32 v28, v21, 0xbf737871, v2
	v_fmac_f32_e32 v2, 0x3f737871, v21
	v_fmac_f32_e32 v96, 0x3f167918, v42
	;; [unrolled: 1-line block ×6, first 2 shown]
	v_fmamk_f32 v20, v47, 0x3f737871, v10
	v_fmac_f32_e32 v10, 0xbf737871, v47
	v_fmamk_f32 v21, v45, 0xbf737871, v54
	v_fmac_f32_e32 v54, 0x3f737871, v45
	v_fmac_f32_e32 v85, 0xbf167918, v47
	v_add_f32_e32 v134, v134, v135
	v_add_f32_e32 v127, v127, v129
	;; [unrolled: 1-line block ×3, first 2 shown]
	v_fmac_f32_e32 v132, 0x3f167918, v34
	v_fmac_f32_e32 v81, 0xbf167918, v34
	;; [unrolled: 1-line block ×5, first 2 shown]
	v_fmamk_f32 v145, v23, 0x3f737871, v5
	v_fmac_f32_e32 v5, 0xbf737871, v23
	v_fmamk_f32 v146, v29, 0x3f737871, v118
	v_fmac_f32_e32 v118, 0xbf737871, v29
	v_fmamk_f32 v148, v26, 0xbf737871, v130
	v_fmac_f32_e32 v130, 0x3f737871, v26
	v_fmac_f32_e32 v103, 0xbf167918, v40
	v_fmac_f32_e32 v11, 0x3f167918, v45
	;; [unrolled: 1-line block ×8, first 2 shown]
	v_fmamk_f32 v147, v25, 0xbf737871, v144
	v_fmac_f32_e32 v144, 0x3f737871, v25
	v_fmac_f32_e32 v85, 0x3e9e377a, v88
	;; [unrolled: 1-line block ×16, first 2 shown]
	v_mul_u32_u24_e32 v138, 10, v56
	v_fmac_f32_e32 v146, 0x3f167918, v25
	v_fmac_f32_e32 v118, 0xbf167918, v25
	v_fmac_f32_e32 v5, 0x3f167918, v26
	v_fmac_f32_e32 v148, 0xbf167918, v23
	v_fmac_f32_e32 v130, 0x3f167918, v23
	v_fmac_f32_e32 v145, 0xbf167918, v26
	v_fmac_f32_e32 v21, 0xbf167918, v39
	v_fmac_f32_e32 v11, 0x3e9e377a, v89
	v_fmac_f32_e32 v103, 0x3e9e377a, v134
	v_fmac_f32_e32 v20, 0x3e9e377a, v107
	v_fmac_f32_e32 v10, 0x3e9e377a, v107
	v_fmac_f32_e32 v24, 0x3e9e377a, v89
	v_fmac_f32_e32 v4, 0x3e9e377a, v88
	v_fmac_f32_e32 v54, 0x3e9e377a, v110
	v_mul_f32_e32 v25, 0x3f4f1bbd, v96
	v_mul_f32_e32 v26, 0xbf167918, v96
	v_fmac_f32_e32 v28, 0x3f167918, v22
	v_fmac_f32_e32 v2, 0xbf167918, v22
	;; [unrolled: 1-line block ×4, first 2 shown]
	v_add_f32_e32 v8, v32, v18
	v_sub_f32_e32 v12, v32, v18
	v_mul_f32_e32 v18, 0x3e9e377a, v85
	v_mul_f32_e32 v22, 0x3e9e377a, v112
	;; [unrolled: 1-line block ×5, first 2 shown]
	v_add_f32_e32 v121, v121, v124
	v_add_f32_e32 v122, v122, v123
	;; [unrolled: 1-line block ×6, first 2 shown]
	v_sub_f32_e32 v6, v35, v6
	v_sub_f32_e32 v7, v36, v7
	v_add_f32_e32 v9, v33, v19
	v_sub_f32_e32 v13, v33, v19
	v_fmac_f32_e32 v53, 0x3e9e377a, v126
	v_mul_f32_e32 v32, 0x3f4f1bbd, v132
	v_mul_f32_e32 v33, 0xbf167918, v132
	;; [unrolled: 1-line block ×10, first 2 shown]
	v_lshl_add_u32 v138, v138, 3, 0
	v_fmac_f32_e32 v27, 0x3e9e377a, v131
	v_fmac_f32_e32 v104, 0x3e9e377a, v120
	;; [unrolled: 1-line block ×5, first 2 shown]
	v_mul_f32_e32 v19, 0x3e9e377a, v11
	v_mul_f32_e32 v88, 0x3f737871, v24
	;; [unrolled: 1-line block ×7, first 2 shown]
	v_fmac_f32_e32 v25, 0x3f167918, v103
	v_fmac_f32_e32 v26, 0x3f4f1bbd, v103
	v_fmac_f32_e32 v3, 0x3e9e377a, v106
	v_fmac_f32_e32 v94, 0x3e9e377a, v106
	v_fmac_f32_e32 v28, 0x3e9e377a, v136
	v_fmac_f32_e32 v2, 0x3e9e377a, v136
	v_fmac_f32_e32 v147, 0x3e9e377a, v100
	v_fmac_f32_e32 v144, 0x3e9e377a, v100
	v_fma_f32 v100, 0x3f737871, v11, -v18
	v_fma_f32 v11, 0xbf737871, v111, -v22
	v_fmac_f32_e32 v29, 0x3e9e377a, v95
	v_fmac_f32_e32 v30, 0x3e9e377a, v93
	v_fma_f32 v47, 0x3f737871, v112, -v38
	v_fmac_f32_e32 v43, 0x3e9e377a, v122
	v_fmac_f32_e32 v62, 0x3e9e377a, v114
	;; [unrolled: 1-line block ×11, first 2 shown]
	v_fma_f32 v42, 0x3f737871, v87, -v23
	v_fma_f32 v44, 0xbf737871, v86, -v31
	;; [unrolled: 1-line block ×6, first 2 shown]
	v_fmac_f32_e32 v139, 0x3e9e377a, v121
	v_add_nc_u32_e32 v135, 0x2580, v138
	v_fmac_f32_e32 v5, 0x3e9e377a, v140
	v_fmac_f32_e32 v92, 0x3e9e377a, v114
	;; [unrolled: 1-line block ×6, first 2 shown]
	v_fma_f32 v18, 0xbf737871, v85, -v19
	v_fmac_f32_e32 v88, 0x3e9e377a, v4
	v_fmac_f32_e32 v89, 0x3f167918, v21
	;; [unrolled: 1-line block ×3, first 2 shown]
	v_fma_f32 v93, 0x3f167918, v54, -v20
	v_fmac_f32_e32 v96, 0x3e9e377a, v24
	v_fma_f32 v95, 0xbf167918, v10, -v41
	v_add_f32_e32 v22, v27, v25
	v_add_f32_e32 v23, v104, v26
	v_add_nc_u32_e32 v142, 0x2590, v138
	v_add_f32_e32 v4, v3, v11
	v_sub_f32_e32 v11, v3, v11
	v_sub_f32_e32 v24, v27, v25
	;; [unrolled: 1-line block ×3, first 2 shown]
	v_add_f32_e32 v26, v28, v29
	v_add_f32_e32 v27, v94, v30
	;; [unrolled: 1-line block ×3, first 2 shown]
	v_add_nc_u32_e32 v124, 0x25a0, v138
	v_add_f32_e32 v31, v43, v33
	v_sub_f32_e32 v33, v43, v33
	v_add_f32_e32 v38, v62, v42
	v_add_f32_e32 v39, v63, v44
	v_sub_f32_e32 v40, v62, v42
	v_sub_f32_e32 v41, v63, v44
	v_add_f32_e32 v42, v55, v45
	v_add_f32_e32 v43, v61, v46
	v_sub_f32_e32 v44, v55, v45
	v_sub_f32_e32 v45, v61, v46
	;; [unrolled: 1-line block ×3, first 2 shown]
	v_add_f32_e32 v46, v60, v53
	v_add_f32_e32 v47, v52, v81
	v_add_nc_u32_e32 v123, 0x25b0, v138
	v_sub_f32_e32 v28, v28, v29
	v_sub_f32_e32 v29, v94, v30
	v_add_f32_e32 v30, v139, v32
	v_sub_f32_e32 v53, v60, v53
	v_add_nc_u32_e32 v129, 0x25c0, v138
	v_add_nc_u32_e32 v128, 0x4b00, v138
	;; [unrolled: 1-line block ×6, first 2 shown]
	v_add_f32_e32 v14, v16, v101
	v_add_f32_e32 v15, v17, v102
	v_sub_f32_e32 v16, v16, v101
	v_sub_f32_e32 v17, v17, v102
	v_add_f32_e32 v19, v5, v18
	v_sub_f32_e32 v21, v5, v18
	v_sub_f32_e32 v32, v139, v32
	v_add_f32_e32 v34, v92, v36
	v_add_f32_e32 v35, v90, v37
	v_sub_f32_e32 v36, v92, v36
	v_sub_f32_e32 v37, v90, v37
	;; [unrolled: 1-line block ×3, first 2 shown]
	v_add_f32_e32 v18, v144, v100
	v_sub_f32_e32 v20, v144, v100
	v_add_f32_e32 v60, v146, v89
	v_add_f32_e32 v61, v148, v91
	v_sub_f32_e32 v62, v146, v89
	v_sub_f32_e32 v63, v148, v91
	v_add_f32_e32 v84, v147, v88
	v_add_f32_e32 v85, v145, v96
	v_sub_f32_e32 v86, v147, v88
	;; [unrolled: 4-line block ×3, first 2 shown]
	v_sub_f32_e32 v91, v130, v95
	ds_write2_b64 v135, v[0:1], v[22:23] offset1:1
	ds_write2_b64 v142, v[26:27], v[3:4] offset1:1
	ds_write2_b64 v124, v[46:47], v[6:7] offset1:1
	ds_write2_b64 v123, v[24:25], v[28:29] offset1:1
	ds_write2_b64 v138, v[8:9], v[30:31] offset1:1
	ds_write2_b64 v138, v[34:35], v[38:39] offset0:2 offset1:3
	ds_write2_b64 v138, v[42:43], v[12:13] offset0:4 offset1:5
	;; [unrolled: 1-line block ×4, first 2 shown]
	ds_write2_b64 v129, v[10:11], v[53:54] offset1:1
	ds_write2_b64 v128, v[14:15], v[60:61] offset1:1
	;; [unrolled: 1-line block ×6, first 2 shown]
	s_waitcnt lgkmcnt(0)
	s_barrier
	buffer_gl0_inv
	s_clause 0x1
	global_load_dwordx2 v[52:53], v99, s[8:9] offset:64
	global_load_dwordx4 v[4:7], v117, s[8:9] offset:48
	v_mul_u32_u24_sdwa v0, v50, v141 dst_sel:DWORD dst_unused:UNUSED_PAD src0_sel:BYTE_0 src1_sel:DWORD
	v_mov_b32_e32 v54, 0x320
	v_mov_b32_e32 v81, 3
	v_lshlrev_b32_e32 v28, 3, v0
	s_clause 0xc
	global_load_dwordx4 v[0:3], v28, s[8:9] offset:48
	global_load_dwordx4 v[32:35], v99, s[8:9] offset:48
	;; [unrolled: 1-line block ×8, first 2 shown]
	global_load_dwordx4 v[40:43], v117, s[8:9]
	global_load_dwordx4 v[36:39], v28, s[8:9]
	global_load_dwordx2 v[62:63], v28, s[8:9] offset:64
	global_load_dwordx2 v[60:61], v117, s[8:9] offset:64
	global_load_dwordx4 v[28:31], v99, s[8:9]
	ds_read2_b64 v[87:90], v72 offset0:48 offset1:168
	v_mul_u32_u24_sdwa v51, v51, v54 dst_sel:DWORD dst_unused:UNUSED_PAD src0_sel:WORD_0 src1_sel:DWORD
	v_mul_u32_u24_sdwa v48, v48, v54 dst_sel:DWORD dst_unused:UNUSED_PAD src0_sel:WORD_0 src1_sel:DWORD
	v_lshlrev_b32_sdwa v49, v81, v49 dst_sel:DWORD dst_unused:UNUSED_PAD src0_sel:DWORD src1_sel:BYTE_0
	v_lshlrev_b32_sdwa v50, v81, v50 dst_sel:DWORD dst_unused:UNUSED_PAD src0_sel:DWORD src1_sel:BYTE_0
	ds_read2_b64 v[91:94], v77 offset0:80 offset1:200
	ds_read2_b64 v[95:98], v65 offset0:64 offset1:184
	;; [unrolled: 1-line block ×12, first 2 shown]
	v_add3_u32 v86, 0, v51, v49
	v_add3_u32 v84, 0, v48, v50
	ds_read2_b64 v[48:51], v70 offset0:112 offset1:232
	s_waitcnt vmcnt(14) lgkmcnt(13)
	v_mul_f32_e32 v54, v90, v53
	v_mul_f32_e32 v139, v89, v53
	s_waitcnt vmcnt(13)
	v_mul_f32_e32 v53, v88, v7
	v_mul_f32_e32 v7, v87, v7
	v_fma_f32 v89, v89, v52, -v54
	v_fmac_f32_e32 v139, v90, v52
	v_fma_f32 v85, v87, v6, -v53
	v_fmac_f32_e32 v7, v88, v6
	s_waitcnt lgkmcnt(12)
	v_mul_f32_e32 v6, v94, v5
	v_mul_f32_e32 v5, v93, v5
	s_waitcnt vmcnt(12)
	v_mul_f32_e32 v87, v92, v1
	v_mul_f32_e32 v88, v91, v1
	s_waitcnt lgkmcnt(11)
	v_mul_f32_e32 v1, v98, v3
	v_fma_f32 v6, v93, v4, -v6
	v_fmac_f32_e32 v5, v94, v4
	v_mul_f32_e32 v90, v97, v3
	s_waitcnt vmcnt(11)
	v_mul_f32_e32 v3, v96, v35
	v_fma_f32 v87, v91, v0, -v87
	v_mul_f32_e32 v35, v95, v35
	s_waitcnt lgkmcnt(10)
	v_mul_f32_e32 v4, v102, v33
	v_mul_f32_e32 v91, v101, v33
	ds_read2_b64 v[52:55], v64 offset1:120
	v_fmac_f32_e32 v88, v92, v0
	s_waitcnt vmcnt(10)
	v_mul_f32_e32 v92, v100, v15
	v_fma_f32 v33, v97, v2, -v1
	v_fmac_f32_e32 v90, v98, v2
	v_mul_f32_e32 v0, v99, v15
	s_waitcnt lgkmcnt(10)
	v_mul_f32_e32 v15, v106, v13
	v_mul_f32_e32 v1, v105, v13
	s_waitcnt vmcnt(9)
	v_mul_f32_e32 v13, v104, v25
	v_fma_f32 v93, v95, v34, -v3
	v_fmac_f32_e32 v35, v96, v34
	v_mul_f32_e32 v25, v103, v25
	s_waitcnt lgkmcnt(9)
	v_mul_f32_e32 v34, v110, v27
	v_mul_f32_e32 v27, v109, v27
	s_waitcnt vmcnt(8)
	v_mul_f32_e32 v94, v108, v11
	v_fma_f32 v95, v101, v32, -v4
	v_fmac_f32_e32 v91, v102, v32
	v_mul_f32_e32 v32, v107, v11
	s_waitcnt vmcnt(7) lgkmcnt(8)
	v_mul_f32_e32 v98, v112, v23
	v_mul_f32_e32 v2, v111, v23
	;; [unrolled: 1-line block ×4, first 2 shown]
	v_fma_f32 v3, v99, v14, -v92
	v_fmac_f32_e32 v0, v100, v14
	s_waitcnt lgkmcnt(7)
	v_mul_f32_e32 v14, v118, v21
	v_mul_f32_e32 v4, v117, v21
	v_fma_f32 v11, v105, v12, -v15
	s_waitcnt vmcnt(6) lgkmcnt(6)
	v_mul_f32_e32 v15, v122, v19
	v_mul_f32_e32 v92, v121, v19
	s_waitcnt vmcnt(5)
	v_mul_f32_e32 v99, v120, v47
	v_fma_f32 v100, v103, v24, -v13
	v_fmac_f32_e32 v25, v104, v24
	v_mul_f32_e32 v24, v119, v47
	s_waitcnt lgkmcnt(5)
	v_mul_f32_e32 v47, v126, v45
	v_mul_f32_e32 v45, v125, v45
	v_fma_f32 v19, v109, v26, -v34
	v_fmac_f32_e32 v27, v110, v26
	s_waitcnt vmcnt(4) lgkmcnt(4)
	v_mul_f32_e32 v26, v130, v41
	v_mul_f32_e32 v13, v129, v41
	s_waitcnt vmcnt(3)
	v_mul_f32_e32 v34, v128, v37
	v_fma_f32 v41, v107, v10, -v94
	v_fmac_f32_e32 v32, v108, v10
	s_waitcnt vmcnt(0) lgkmcnt(2)
	v_mul_f32_e32 v102, v136, v31
	v_mul_f32_e32 v31, v135, v31
	v_fma_f32 v10, v111, v22, -v98
	v_fmac_f32_e32 v2, v112, v22
	s_waitcnt lgkmcnt(1)
	v_mul_f32_e32 v22, v29, v51
	v_mul_f32_e32 v21, v116, v17
	;; [unrolled: 1-line block ×9, first 2 shown]
	v_fmac_f32_e32 v1, v106, v12
	v_mul_f32_e32 v37, v132, v63
	v_fma_f32 v94, v113, v8, -v96
	v_fmac_f32_e32 v97, v114, v8
	v_mul_f32_e32 v63, v131, v63
	v_mul_f32_e32 v96, v134, v61
	;; [unrolled: 1-line block ×3, first 2 shown]
	v_fma_f32 v12, v117, v20, -v14
	v_fmac_f32_e32 v4, v118, v20
	v_fma_f32 v20, v121, v18, -v15
	v_fmac_f32_e32 v92, v122, v18
	v_fma_f32 v61, v119, v46, -v99
	v_fmac_f32_e32 v24, v120, v46
	v_fma_f32 v46, v125, v44, -v47
	v_fmac_f32_e32 v45, v126, v44
	v_fma_f32 v18, v127, v36, -v34
	v_fma_f32 v34, v135, v30, -v102
	v_fmac_f32_e32 v31, v136, v30
	v_fma_f32 v30, v28, v50, -v22
	v_fmac_f32_e32 v23, v116, v16
	v_fmac_f32_e32 v17, v128, v36
	;; [unrolled: 1-line block ×4, first 2 shown]
	v_fma_f32 v21, v115, v16, -v21
	v_fma_f32 v14, v123, v42, -v101
	v_fmac_f32_e32 v9, v124, v42
	v_fma_f32 v16, v129, v40, -v26
	v_fmac_f32_e32 v13, v130, v40
	v_fma_f32 v47, v137, v38, -v43
	v_fma_f32 v26, v131, v62, -v37
	v_fmac_f32_e32 v63, v132, v62
	v_fma_f32 v15, v133, v60, -v96
	v_fmac_f32_e32 v8, v134, v60
	v_sub_f32_e32 v22, v46, v94
	v_sub_f32_e32 v28, v89, v95
	;; [unrolled: 1-line block ×3, first 2 shown]
	v_add_f32_e32 v37, v97, v91
	v_add_f32_e32 v38, v94, v95
	v_sub_f32_e32 v40, v139, v91
	v_sub_f32_e32 v42, v46, v89
	;; [unrolled: 1-line block ×6, first 2 shown]
	v_add_f32_e32 v102, v30, v46
	v_sub_f32_e32 v113, v94, v46
	v_add_f32_e32 v46, v46, v89
	v_sub_f32_e32 v43, v45, v139
	s_waitcnt lgkmcnt(0)
	v_add_f32_e32 v101, v53, v31
	v_add_f32_e32 v103, v29, v45
	v_sub_f32_e32 v115, v97, v45
	v_add_f32_e32 v45, v45, v139
	v_add_f32_e32 v133, v55, v39
	;; [unrolled: 1-line block ×6, first 2 shown]
	v_sub_f32_e32 v105, v31, v35
	v_sub_f32_e32 v107, v34, v93
	;; [unrolled: 1-line block ×3, first 2 shown]
	v_add_f32_e32 v34, v34, v93
	v_sub_f32_e32 v110, v41, v93
	v_sub_f32_e32 v111, v24, v31
	v_add_f32_e32 v31, v31, v35
	v_sub_f32_e32 v121, v21, v100
	v_add_f32_e32 v125, v100, v87
	v_add_f32_e32 v126, v25, v88
	v_sub_f32_e32 v127, v21, v26
	v_add_f32_e32 v134, v18, v21
	v_add_f32_e32 v136, v92, v27
	;; [unrolled: 1-line block ×6, first 2 shown]
	v_sub_f32_e32 v22, v92, v39
	v_sub_f32_e32 v62, v27, v90
	;; [unrolled: 1-line block ×3, first 2 shown]
	v_add_f32_e32 v21, v21, v26
	v_fma_f32 v38, -0.5, v38, v30
	v_fmac_f32_e32 v30, -0.5, v46
	v_add_f32_e32 v46, v2, v0
	v_fma_f32 v37, -0.5, v37, v29
	v_sub_f32_e32 v44, v94, v95
	v_sub_f32_e32 v50, v97, v91
	;; [unrolled: 1-line block ×8, first 2 shown]
	v_add_f32_e32 v39, v39, v90
	v_add_f32_e32 v24, v101, v24
	v_sub_f32_e32 v101, v25, v23
	v_fmac_f32_e32 v29, -0.5, v45
	v_add_f32_e32 v92, v133, v92
	v_add_f32_e32 v25, v135, v25
	v_sub_f32_e32 v108, v61, v41
	v_sub_f32_e32 v128, v100, v87
	;; [unrolled: 1-line block ×3, first 2 shown]
	v_add_f32_e32 v131, v54, v47
	v_add_f32_e32 v132, v20, v19
	;; [unrolled: 1-line block ×9, first 2 shown]
	v_fma_f32 v134, -0.5, v136, v55
	v_fma_f32 v126, -0.5, v126, v17
	v_add_f32_e32 v62, v22, v62
	v_sub_f32_e32 v22, v1, v4
	v_fma_f32 v125, -0.5, v125, v18
	v_fmac_f32_e32 v18, -0.5, v21
	v_sub_f32_e32 v21, v5, v8
	v_fma_f32 v136, -0.5, v46, v49
	v_fma_f32 v46, -0.5, v99, v52
	;; [unrolled: 1-line block ×5, first 2 shown]
	v_fmamk_f32 v31, v42, 0xbf737871, v37
	v_fmamk_f32 v34, v43, 0x3f737871, v38
	v_sub_f32_e32 v112, v32, v35
	v_sub_f32_e32 v114, v95, v89
	;; [unrolled: 1-line block ×6, first 2 shown]
	v_add_f32_e32 v133, v1, v5
	v_fmac_f32_e32 v55, -0.5, v39
	v_add_f32_e32 v39, v4, v8
	v_add_f32_e32 v27, v92, v27
	v_fmamk_f32 v92, v50, 0xbf737871, v30
	v_fmac_f32_e32 v30, 0x3f737871, v50
	v_add_f32_e32 v25, v25, v88
	v_fmamk_f32 v88, v44, 0x3f737871, v29
	v_fmac_f32_e32 v29, 0xbf737871, v44
	v_fmac_f32_e32 v38, 0xbf737871, v43
	;; [unrolled: 1-line block ×3, first 2 shown]
	v_sub_f32_e32 v117, v47, v20
	v_sub_f32_e32 v118, v33, v19
	;; [unrolled: 1-line block ×3, first 2 shown]
	v_fmac_f32_e32 v17, -0.5, v23
	v_add_f32_e32 v23, v131, v20
	v_fma_f32 v104, -0.5, v132, v54
	v_fma_f32 v54, -0.5, v110, v54
	v_add_f32_e32 v110, v22, v21
	v_add_f32_e32 v21, v61, v41
	;; [unrolled: 1-line block ×5, first 2 shown]
	v_fmamk_f32 v94, v127, 0xbf737871, v126
	v_fmamk_f32 v95, v129, 0x3f737871, v125
	v_fmac_f32_e32 v34, 0x3f167918, v50
	v_fmac_f32_e32 v31, 0xbf167918, v44
	v_add_f32_e32 v109, v111, v112
	v_add_f32_e32 v111, v113, v114
	v_add_f32_e32 v45, v115, v116
	v_add_f32_e32 v135, v13, v4
	v_fma_f32 v133, -0.5, v133, v13
	v_fmac_f32_e32 v13, -0.5, v39
	v_fmamk_f32 v39, v105, 0x3f737871, v46
	v_fmac_f32_e32 v46, 0xbf737871, v105
	v_fmac_f32_e32 v92, 0x3f167918, v43
	;; [unrolled: 1-line block ×7, first 2 shown]
	v_sub_f32_e32 v140, v47, v33
	v_sub_f32_e32 v98, v87, v26
	v_add_f32_e32 v112, v9, v7
	v_add_f32_e32 v115, v117, v118
	;; [unrolled: 1-line block ×5, first 2 shown]
	v_fmamk_f32 v41, v107, 0xbf737871, v99
	v_fmamk_f32 v91, v108, 0x3f737871, v53
	v_fmac_f32_e32 v53, 0xbf737871, v108
	v_add_f32_e32 v87, v100, v87
	v_fmac_f32_e32 v99, 0x3f737871, v107
	v_add_f32_e32 v93, v21, v93
	v_add_f32_e32 v35, v22, v35
	;; [unrolled: 1-line block ×5, first 2 shown]
	v_fmamk_f32 v100, v128, 0x3f737871, v17
	v_fmac_f32_e32 v17, 0xbf737871, v128
	v_fmac_f32_e32 v94, 0xbf167918, v128
	;; [unrolled: 1-line block ×5, first 2 shown]
	v_fmamk_f32 v61, v106, 0xbf737871, v52
	v_fmac_f32_e32 v52, 0x3f737871, v106
	v_fmac_f32_e32 v39, 0x3f167918, v106
	;; [unrolled: 1-line block ×9, first 2 shown]
	v_sub_f32_e32 v51, v20, v19
	v_add_f32_e32 v113, v49, v9
	v_add_f32_e32 v118, v11, v6
	;; [unrolled: 1-line block ×4, first 2 shown]
	v_fmac_f32_e32 v49, -0.5, v112
	v_sub_f32_e32 v112, v11, v6
	v_fmamk_f32 v89, v137, 0x3f737871, v104
	v_fmamk_f32 v97, v140, 0xbf737871, v134
	v_fmac_f32_e32 v91, 0xbf167918, v107
	v_fmac_f32_e32 v53, 0x3f167918, v107
	v_fmamk_f32 v107, v130, 0xbf737871, v18
	v_fmac_f32_e32 v18, 0x3f737871, v130
	v_fmac_f32_e32 v41, 0xbf167918, v108
	v_fmac_f32_e32 v99, 0x3f167918, v108
	v_fmac_f32_e32 v17, 0x3f167918, v127
	v_add_f32_e32 v22, v35, v24
	v_sub_f32_e32 v24, v35, v24
	v_fmac_f32_e32 v94, 0x3e9e377a, v121
	v_fmac_f32_e32 v95, 0x3e9e377a, v119
	v_mul_f32_e32 v35, 0x3f167918, v31
	v_mul_f32_e32 v36, 0xbf167918, v34
	v_fmac_f32_e32 v61, 0x3f167918, v105
	v_fmac_f32_e32 v52, 0xbf167918, v105
	v_add_f32_e32 v90, v27, v90
	v_fmac_f32_e32 v39, 0x3e9e377a, v40
	v_fmac_f32_e32 v46, 0x3e9e377a, v40
	v_mul_f32_e32 v40, 0x3f737871, v88
	v_mul_f32_e32 v42, 0xbf737871, v92
	;; [unrolled: 1-line block ×6, first 2 shown]
	v_add_f32_e32 v122, v16, v12
	v_add_f32_e32 v96, v96, v98
	v_sub_f32_e32 v103, v1, v5
	v_fma_f32 v118, -0.5, v118, v16
	v_fmac_f32_e32 v16, -0.5, v120
	v_sub_f32_e32 v120, v12, v15
	v_fmamk_f32 v106, v112, 0x3f737871, v13
	v_fmac_f32_e32 v13, 0xbf737871, v112
	v_add_f32_e32 v108, v21, v33
	v_fmac_f32_e32 v89, 0x3f167918, v138
	v_fmac_f32_e32 v97, 0xbf167918, v51
	;; [unrolled: 1-line block ×4, first 2 shown]
	v_add_f32_e32 v21, v93, v23
	v_sub_f32_e32 v23, v93, v23
	v_fmac_f32_e32 v99, 0x3e9e377a, v60
	v_fmac_f32_e32 v17, 0x3e9e377a, v101
	v_mul_f32_e32 v60, 0x3f167918, v94
	v_mul_f32_e32 v93, 0xbf167918, v95
	v_fmac_f32_e32 v35, 0x3f4f1bbd, v34
	v_fmac_f32_e32 v36, 0x3f4f1bbd, v31
	v_fmac_f32_e32 v61, 0x3e9e377a, v102
	v_fmac_f32_e32 v52, 0x3e9e377a, v102
	v_fmac_f32_e32 v91, 0x3e9e377a, v109
	v_fmac_f32_e32 v53, 0x3e9e377a, v109
	v_fmac_f32_e32 v40, 0x3e9e377a, v92
	v_fmac_f32_e32 v42, 0x3e9e377a, v88
	v_fma_f32 v45, 0x3f737871, v29, -v27
	v_fma_f32 v50, 0xbf737871, v30, -v28
	;; [unrolled: 1-line block ×4, first 2 shown]
	v_add_f32_e32 v63, v25, v63
	v_sub_f32_e32 v114, v2, v9
	v_sub_f32_e32 v116, v0, v7
	;; [unrolled: 1-line block ×6, first 2 shown]
	v_fmamk_f32 v132, v103, 0xbf737871, v16
	v_fmac_f32_e32 v16, 0x3f737871, v103
	v_add_f32_e32 v87, v87, v26
	v_fmac_f32_e32 v13, 0x3f167918, v120
	v_fmac_f32_e32 v89, 0x3e9e377a, v115
	;; [unrolled: 1-line block ×4, first 2 shown]
	v_mul_f32_e32 v44, 0x3e9e377a, v17
	v_fmac_f32_e32 v60, 0x3f4f1bbd, v95
	v_fmac_f32_e32 v93, 0x3f4f1bbd, v94
	v_add_f32_e32 v27, v39, v35
	v_add_f32_e32 v28, v41, v36
	;; [unrolled: 1-line block ×6, first 2 shown]
	v_sub_f32_e32 v34, v39, v35
	v_sub_f32_e32 v35, v41, v36
	v_add_f32_e32 v36, v46, v88
	v_add_f32_e32 v37, v99, v43
	v_sub_f32_e32 v38, v61, v40
	v_sub_f32_e32 v39, v91, v42
	v_add_f32_e32 v26, v90, v63
	v_sub_f32_e32 v40, v52, v45
	v_sub_f32_e32 v41, v53, v50
	;; [unrolled: 1-line block ×4, first 2 shown]
	s_barrier
	buffer_gl0_inv
	v_add_f32_e32 v114, v114, v116
	v_sub_f32_e32 v116, v14, v85
	v_fmamk_f32 v131, v98, 0x3f737871, v49
	v_fmac_f32_e32 v49, 0xbf737871, v98
	v_add_f32_e32 v25, v108, v87
	v_fma_f32 v92, 0xbf737871, v18, -v44
	v_add_f32_e32 v44, v89, v60
	v_add_f32_e32 v45, v97, v93
	ds_write2_b64 v86, v[21:22], v[27:28] offset1:10
	ds_write2_b64 v86, v[29:30], v[31:32] offset0:20 offset1:30
	ds_write2_b64 v86, v[36:37], v[23:24] offset0:40 offset1:50
	;; [unrolled: 1-line block ×4, first 2 shown]
	ds_write2_b64 v84, v[25:26], v[44:45] offset1:10
	v_add_f32_e32 v21, v10, v3
	v_add_f32_e32 v32, v123, v124
	v_fmac_f32_e32 v16, 0xbf167918, v141
	v_fmac_f32_e32 v13, 0x3e9e377a, v110
	v_sub_f32_e32 v20, v20, v47
	v_sub_f32_e32 v19, v19, v33
	v_fmamk_f32 v26, v138, 0xbf737871, v54
	v_fmac_f32_e32 v54, 0x3f737871, v138
	v_fmac_f32_e32 v49, 0x3f167918, v116
	v_fma_f32 v34, -0.5, v21, v48
	v_fmac_f32_e32 v16, 0x3e9e377a, v32
	v_mul_f32_e32 v21, 0x3e9e377a, v13
	v_add_f32_e32 v24, v20, v19
	v_mul_f32_e32 v18, 0x3e9e377a, v18
	v_fmac_f32_e32 v54, 0xbf167918, v137
	v_fmac_f32_e32 v100, 0xbf167918, v127
	v_add_f32_e32 v19, v14, v85
	v_fmac_f32_e32 v49, 0x3e9e377a, v114
	v_fma_f32 v20, 0xbf737871, v16, -v21
	v_fma_f32 v18, 0x3f737871, v17, -v18
	v_fmac_f32_e32 v54, 0x3e9e377a, v24
	v_fmac_f32_e32 v107, 0x3f167918, v129
	;; [unrolled: 1-line block ×3, first 2 shown]
	v_fma_f32 v33, -0.5, v19, v48
	v_add_f32_e32 v17, v49, v20
	v_sub_f32_e32 v19, v49, v20
	v_add_f32_e32 v45, v54, v18
	v_sub_f32_e32 v49, v54, v18
	v_fmac_f32_e32 v26, 0x3f167918, v137
	v_fmac_f32_e32 v107, 0x3e9e377a, v96
	v_mul_f32_e32 v18, 0x3f737871, v100
	v_sub_f32_e32 v36, v2, v0
	v_add_f32_e32 v35, v48, v14
	v_fmac_f32_e32 v26, 0x3e9e377a, v24
	v_sub_f32_e32 v37, v3, v85
	v_fmac_f32_e32 v18, 0x3e9e377a, v107
	v_mul_f32_e32 v16, 0x3e9e377a, v16
	v_fmamk_f32 v38, v36, 0xbf737871, v33
	v_fmac_f32_e32 v33, 0x3f737871, v36
	v_sub_f32_e32 v39, v9, v7
	v_add_f32_e32 v24, v26, v18
	v_sub_f32_e32 v26, v26, v18
	v_sub_f32_e32 v18, v10, v14
	v_fma_f32 v13, 0x3f737871, v13, -v16
	v_add_f32_e32 v16, v35, v10
	v_fmac_f32_e32 v33, 0xbf167918, v39
	v_add_f32_e32 v35, v113, v2
	v_add_f32_e32 v37, v18, v37
	;; [unrolled: 1-line block ×6, first 2 shown]
	v_fmac_f32_e32 v33, 0x3e9e377a, v37
	v_add_f32_e32 v18, v18, v6
	v_add_f32_e32 v40, v40, v5
	;; [unrolled: 1-line block ×3, first 2 shown]
	v_sub_f32_e32 v11, v12, v11
	v_add_f32_e32 v16, v33, v13
	v_add_f32_e32 v42, v18, v15
	v_sub_f32_e32 v18, v33, v13
	v_add_f32_e32 v33, v35, v7
	v_add_f32_e32 v35, v40, v8
	v_sub_f32_e32 v6, v15, v6
	v_sub_f32_e32 v1, v4, v1
	;; [unrolled: 1-line block ×3, first 2 shown]
	v_fmamk_f32 v5, v120, 0xbf737871, v133
	v_fmamk_f32 v8, v141, 0x3f737871, v118
	v_add_f32_e32 v6, v11, v6
	v_fmac_f32_e32 v118, 0xbf737871, v141
	v_add_f32_e32 v11, v1, v4
	v_fmac_f32_e32 v5, 0xbf167918, v112
	v_fmac_f32_e32 v8, 0x3f167918, v103
	;; [unrolled: 1-line block ×4, first 2 shown]
	v_sub_f32_e32 v10, v14, v10
	v_sub_f32_e32 v3, v85, v3
	;; [unrolled: 1-line block ×4, first 2 shown]
	v_fmac_f32_e32 v5, 0x3e9e377a, v11
	v_fmac_f32_e32 v8, 0x3e9e377a, v6
	v_fmamk_f32 v4, v39, 0x3f737871, v34
	v_fmamk_f32 v9, v116, 0xbf737871, v136
	v_fmac_f32_e32 v133, 0x3f737871, v120
	v_fmac_f32_e32 v106, 0xbf167918, v120
	;; [unrolled: 1-line block ×5, first 2 shown]
	v_add_f32_e32 v7, v10, v3
	v_add_f32_e32 v10, v1, v0
	v_mul_f32_e32 v12, 0x3f167918, v5
	v_mul_f32_e32 v15, 0xbf167918, v8
	v_fmac_f32_e32 v4, 0x3f167918, v36
	v_fmac_f32_e32 v9, 0xbf167918, v98
	;; [unrolled: 1-line block ×8, first 2 shown]
	v_fmamk_f32 v105, v51, 0x3f737871, v55
	v_fmac_f32_e32 v55, 0xbf737871, v51
	v_fmac_f32_e32 v104, 0xbf737871, v137
	;; [unrolled: 1-line block ×12, first 2 shown]
	v_mul_f32_e32 v8, 0x3f737871, v106
	v_fmac_f32_e32 v34, 0xbf167918, v36
	v_fmac_f32_e32 v136, 0x3f167918, v98
	v_mul_f32_e32 v11, 0x3f4f1bbd, v118
	v_fmac_f32_e32 v55, 0x3f167918, v140
	v_fmac_f32_e32 v105, 0xbf167918, v140
	;; [unrolled: 3-line block ×3, first 2 shown]
	v_mul_f32_e32 v25, 0x3f4f1bbd, v125
	v_mul_f32_e32 v28, 0x3f4f1bbd, v126
	v_add_f32_e32 v2, v4, v12
	v_add_f32_e32 v3, v9, v15
	v_sub_f32_e32 v4, v4, v12
	v_sub_f32_e32 v5, v9, v15
	v_fmac_f32_e32 v131, 0xbf167918, v116
	v_mul_f32_e32 v9, 0xbf737871, v132
	v_mul_f32_e32 v12, 0x3f4f1bbd, v133
	v_fmac_f32_e32 v38, 0x3e9e377a, v37
	v_fmac_f32_e32 v8, 0x3e9e377a, v132
	;; [unrolled: 1-line block ×4, first 2 shown]
	v_fma_f32 v10, 0x3f167918, v133, -v11
	v_fmac_f32_e32 v55, 0x3e9e377a, v62
	v_fmac_f32_e32 v105, 0x3e9e377a, v62
	;; [unrolled: 1-line block ×5, first 2 shown]
	v_fma_f32 v30, 0x3f167918, v126, -v25
	v_fma_f32 v31, 0xbf167918, v125, -v28
	v_add_f32_e32 v14, v33, v35
	v_sub_f32_e32 v1, v33, v35
	v_fmac_f32_e32 v131, 0x3e9e377a, v114
	v_fmac_f32_e32 v9, 0x3e9e377a, v106
	v_fma_f32 v15, 0xbf167918, v118, -v12
	v_mul_u32_u24_e32 v35, 0x320, v82
	v_lshlrev_b32_sdwa v36, v81, v83 dst_sel:DWORD dst_unused:UNUSED_PAD src0_sel:DWORD src1_sel:WORD_0
	v_add_f32_e32 v6, v38, v8
	v_sub_f32_e32 v11, v38, v8
	v_add_f32_e32 v8, v34, v10
	v_sub_f32_e32 v32, v34, v10
	v_add_nc_u32_e32 v10, 0xffffff9c, v56
	v_add_f32_e32 v46, v55, v92
	v_sub_f32_e32 v20, v108, v87
	v_sub_f32_e32 v21, v90, v63
	v_add_f32_e32 v25, v105, v27
	v_add_f32_e32 v28, v104, v30
	;; [unrolled: 1-line block ×5, first 2 shown]
	v_sub_f32_e32 v12, v131, v9
	v_add_f32_e32 v9, v136, v15
	v_sub_f32_e32 v33, v136, v15
	v_add3_u32 v15, 0, v35, v36
	v_sub_f32_e32 v22, v89, v60
	v_sub_f32_e32 v23, v97, v93
	;; [unrolled: 1-line block ×4, first 2 shown]
	v_cndmask_b32_e64 v10, v10, v56, s0
	v_sub_f32_e32 v50, v55, v92
	v_sub_f32_e32 v30, v104, v30
	;; [unrolled: 1-line block ×3, first 2 shown]
	ds_write2_b64 v84, v[24:25], v[45:46] offset0:20 offset1:30
	ds_write2_b64 v84, v[28:29], v[20:21] offset0:40 offset1:50
	;; [unrolled: 1-line block ×4, first 2 shown]
	ds_write2_b64 v15, v[13:14], v[2:3] offset1:10
	ds_write2_b64 v15, v[6:7], v[16:17] offset0:20 offset1:30
	v_mul_lo_u16 v2, v80, 41
	ds_write2_b64 v15, v[8:9], v[0:1] offset0:40 offset1:50
	v_mul_i32_i24_e32 v7, 5, v10
	v_mov_b32_e32 v8, 0
	ds_write2_b64 v15, v[4:5], v[11:12] offset0:60 offset1:70
	v_add_nc_u16 v5, v56, 0x168
	v_lshrrev_b16 v9, 12, v2
	v_lshrrev_b16 v2, 2, v78
	v_mov_b32_e32 v3, 0x147b
	v_lshlrev_b64 v[0:1], 3, v[7:8]
	v_lshrrev_b16 v6, 2, v5
	v_add_nc_u16 v20, v56, 0x1e0
	v_mul_lo_u16 v4, 0x64, v9
	v_mul_u32_u24_sdwa v2, v2, v3 dst_sel:DWORD dst_unused:UNUSED_PAD src0_sel:WORD_0 src1_sel:DWORD
	ds_write2_b64 v15, v[18:19], v[32:33] offset0:80 offset1:90
	v_add_co_u32 v13, s0, s8, v0
	v_mul_u32_u24_sdwa v0, v6, v3 dst_sel:DWORD dst_unused:UNUSED_PAD src0_sel:WORD_0 src1_sel:DWORD
	v_add_co_ci_u32_e64 v14, s0, s9, v1, s0
	v_lshrrev_b32_e32 v11, 17, v2
	v_lshrrev_b16 v1, 2, v20
	v_lshrrev_b32_e32 v6, 17, v0
	v_sub_nc_u16 v19, v79, v4
	v_mov_b32_e32 v24, 5
	v_mul_lo_u16 v0, 0x64, v11
	v_mul_u32_u24_sdwa v1, v1, v3 dst_sel:DWORD dst_unused:UNUSED_PAD src0_sel:WORD_0 src1_sel:DWORD
	v_mul_lo_u16 v7, 0x64, v6
	s_waitcnt lgkmcnt(0)
	v_mul_u32_u24_sdwa v15, v19, v24 dst_sel:DWORD dst_unused:UNUSED_PAD src0_sel:BYTE_0 src1_sel:DWORD
	v_sub_nc_u16 v12, v78, v0
	v_lshrrev_b32_e32 v4, 17, v1
	v_sub_nc_u16 v7, v5, v7
	s_barrier
	v_lshlrev_b32_e32 v27, 3, v15
	v_mul_u32_u24_sdwa v5, v12, v24 dst_sel:DWORD dst_unused:UNUSED_PAD src0_sel:WORD_0 src1_sel:DWORD
	v_mul_lo_u16 v21, 0x64, v4
	v_mul_u32_u24_sdwa v22, v7, v24 dst_sel:DWORD dst_unused:UNUSED_PAD src0_sel:WORD_0 src1_sel:DWORD
	buffer_gl0_inv
	global_load_dwordx4 v[0:3], v[13:14], off offset:736
	v_lshlrev_b32_e32 v36, 3, v5
	v_sub_nc_u16 v5, v20, v21
	global_load_dwordx4 v[15:18], v27, s[8:9] offset:736
	v_lshlrev_b32_e32 v37, 3, v22
	v_cmp_lt_u32_e64 s0, 0x63, v56
	global_load_dwordx4 v[20:23], v36, s[8:9] offset:736
	v_mul_u32_u24_sdwa v24, v5, v24 dst_sel:DWORD dst_unused:UNUSED_PAD src0_sel:WORD_0 src1_sel:DWORD
	v_mul_u32_u24_e32 v11, 0x12c0, v11
	global_load_dwordx4 v[28:31], v37, s[8:9] offset:736
	v_lshlrev_b32_sdwa v12, v81, v12 dst_sel:DWORD dst_unused:UNUSED_PAD src0_sel:DWORD src1_sel:WORD_0
	v_lshlrev_b32_sdwa v5, v81, v5 dst_sel:DWORD dst_unused:UNUSED_PAD src0_sel:DWORD src1_sel:WORD_0
	v_lshlrev_b32_e32 v24, 3, v24
	s_clause 0xa
	global_load_dwordx4 v[32:35], v24, s[8:9] offset:736
	global_load_dwordx2 v[25:26], v[13:14], off offset:752
	global_load_dwordx2 v[42:43], v27, s[8:9] offset:752
	global_load_dwordx2 v[78:79], v36, s[8:9] offset:752
	;; [unrolled: 1-line block ×4, first 2 shown]
	global_load_dwordx4 v[47:50], v24, s[8:9] offset:720
	global_load_dwordx4 v[51:54], v37, s[8:9] offset:720
	global_load_dwordx4 v[60:63], v36, s[8:9] offset:720
	global_load_dwordx4 v[82:85], v[13:14], off offset:720
	global_load_dwordx4 v[86:89], v27, s[8:9] offset:720
	ds_read2_b32 v[13:14], v71 offset0:16 offset1:17
	ds_read2_b64 v[38:41], v74 offset0:96 offset1:216
	ds_read2_b64 v[90:93], v71 offset0:128 offset1:248
	;; [unrolled: 1-line block ×7, first 2 shown]
	ds_read_b64 v[134:135], v64 offset:13440
	ds_read2_b64 v[114:117], v69 offset0:64 offset1:184
	ds_read2_b64 v[118:121], v66 offset0:32 offset1:152
	;; [unrolled: 1-line block ×4, first 2 shown]
	s_waitcnt vmcnt(14) lgkmcnt(12)
	v_mul_f32_e32 v24, v14, v1
	v_mul_f32_e32 v55, v1, v13
	s_waitcnt lgkmcnt(11)
	v_mul_f32_e32 v1, v39, v3
	v_mul_f32_e32 v80, v38, v3
	s_waitcnt vmcnt(13)
	v_mul_f32_e32 v3, v41, v18
	v_mul_f32_e32 v44, v40, v18
	s_waitcnt lgkmcnt(10)
	v_mul_f32_e32 v18, v91, v16
	v_mul_f32_e32 v45, v90, v16
	s_waitcnt vmcnt(12)
	v_mul_f32_e32 v136, v93, v21
	v_mul_f32_e32 v36, v92, v21
	s_waitcnt lgkmcnt(9)
	v_mul_f32_e32 v21, v95, v23
	v_mul_f32_e32 v37, v94, v23
	v_fma_f32 v137, v0, v13, -v24
	v_fmac_f32_e32 v55, v14, v0
	s_waitcnt vmcnt(11) lgkmcnt(8)
	v_mul_f32_e32 v0, v99, v29
	v_fma_f32 v138, v38, v2, -v1
	v_fmac_f32_e32 v80, v39, v2
	s_waitcnt vmcnt(10)
	v_mul_f32_e32 v1, v101, v33
	s_waitcnt lgkmcnt(7)
	v_mul_f32_e32 v2, v103, v35
	v_fma_f32 v139, v40, v17, -v3
	s_waitcnt vmcnt(9)
	v_mul_f32_e32 v3, v105, v26
	v_mul_f32_e32 v23, v97, v31
	;; [unrolled: 1-line block ×5, first 2 shown]
	v_fmac_f32_e32 v44, v41, v17
	v_mul_f32_e32 v13, v102, v35
	v_mul_f32_e32 v140, v104, v26
	v_fma_f32 v90, v90, v15, -v18
	v_fmac_f32_e32 v45, v91, v15
	s_waitcnt vmcnt(4) lgkmcnt(4)
	v_mul_f32_e32 v91, v135, v50
	v_fma_f32 v39, v94, v22, -v21
	v_fmac_f32_e32 v37, v95, v22
	v_mul_f32_e32 v17, v134, v50
	s_waitcnt lgkmcnt(3)
	v_mul_f32_e32 v22, v117, v48
	v_mul_f32_e32 v15, v116, v48
	s_waitcnt vmcnt(3)
	v_mul_f32_e32 v48, v115, v52
	s_waitcnt lgkmcnt(2)
	v_mul_f32_e32 v50, v121, v54
	v_mul_f32_e32 v26, v120, v54
	v_fma_f32 v35, v98, v28, -v0
	v_fma_f32 v33, v100, v32, -v1
	;; [unrolled: 1-line block ×4, first 2 shown]
	ds_read2_b64 v[0:3], v75 offset0:96 offset1:216
	v_mul_f32_e32 v31, v107, v43
	v_fma_f32 v23, v96, v30, -v23
	v_fmac_f32_e32 v16, v97, v30
	v_mul_f32_e32 v24, v114, v52
	v_fmac_f32_e32 v29, v99, v28
	v_fmac_f32_e32 v13, v103, v34
	v_fma_f32 v30, v134, v49, -v91
	v_fmac_f32_e32 v17, v135, v49
	v_fma_f32 v22, v116, v47, -v22
	;; [unrolled: 2-line block ×3, first 2 shown]
	v_fma_f32 v34, v120, v53, -v50
	ds_read2_b64 v[47:50], v64 offset1:120
	v_mul_f32_e32 v46, v106, v43
	v_mul_f32_e32 v43, v109, v79
	v_fma_f32 v40, v92, v20, -v136
	s_waitcnt vmcnt(2)
	v_mul_f32_e32 v52, v119, v63
	v_fmac_f32_e32 v27, v101, v32
	v_fma_f32 v92, v106, v42, -v31
	v_fmac_f32_e32 v24, v115, v51
	s_waitcnt lgkmcnt(3)
	v_mul_f32_e32 v32, v125, v61
	v_mul_f32_e32 v31, v124, v61
	s_waitcnt vmcnt(1) lgkmcnt(2)
	v_mul_f32_e32 v51, v85, v127
	v_fmac_f32_e32 v46, v107, v42
	v_fma_f32 v42, v108, v78, -v43
	v_fmac_f32_e32 v26, v121, v53
	v_fma_f32 v43, v118, v62, -v52
	v_fma_f32 v32, v124, v60, -v32
	v_fmac_f32_e32 v31, v125, v60
	s_waitcnt vmcnt(0)
	v_mul_f32_e32 v52, v123, v87
	v_mul_f32_e32 v87, v122, v87
	;; [unrolled: 1-line block ×3, first 2 shown]
	v_fma_f32 v51, v84, v126, -v51
	v_mul_f32_e32 v60, v85, v126
	v_fmac_f32_e32 v140, v105, v25
	v_fma_f32 v85, v122, v86, -v52
	v_fmac_f32_e32 v87, v123, v86
	v_fma_f32 v86, v128, v88, -v53
	v_add_f32_e32 v52, v51, v138
	v_fmac_f32_e32 v60, v84, v127
	s_waitcnt lgkmcnt(1)
	v_mul_f32_e32 v53, v83, v3
	v_mul_f32_e32 v61, v83, v2
	;; [unrolled: 1-line block ×4, first 2 shown]
	s_waitcnt lgkmcnt(0)
	v_fma_f32 v83, -0.5, v52, v47
	v_sub_f32_e32 v52, v60, v80
	v_fma_f32 v2, v82, v2, -v53
	v_fmac_f32_e32 v61, v82, v3
	v_add_f32_e32 v3, v137, v54
	v_add_f32_e32 v53, v55, v140
	v_mul_f32_e32 v79, v111, v131
	v_fmac_f32_e32 v38, v109, v78
	v_fmac_f32_e32 v41, v119, v62
	v_add_f32_e32 v62, v48, v60
	v_fmamk_f32 v78, v52, 0x3f5db3d7, v83
	v_fmac_f32_e32 v83, 0xbf5db3d7, v52
	v_add_f32_e32 v52, v60, v80
	v_add_f32_e32 v60, v2, v137
	v_fmac_f32_e32 v2, -0.5, v3
	v_sub_f32_e32 v3, v55, v140
	v_add_f32_e32 v55, v61, v55
	v_fmac_f32_e32 v61, -0.5, v53
	v_sub_f32_e32 v53, v137, v54
	v_fma_f32 v25, v110, v130, -v79
	v_fmamk_f32 v63, v3, 0x3f5db3d7, v2
	v_fmac_f32_e32 v2, 0xbf5db3d7, v3
	v_lshlrev_b32_e32 v3, 3, v10
	v_fmamk_f32 v79, v53, 0xbf5db3d7, v61
	v_cndmask_b32_e64 v10, 0, 0x12c0, s0
	v_fmac_f32_e32 v36, v93, v20
	v_mul_f32_e32 v84, v128, v89
	v_fmac_f32_e32 v61, 0x3f5db3d7, v53
	v_add_f32_e32 v47, v47, v51
	v_add3_u32 v93, 0, v10, v3
	v_mul_f32_e32 v10, 0x3f5db3d7, v79
	v_fmac_f32_e32 v84, v129, v88
	v_sub_f32_e32 v51, v51, v138
	v_fma_f32 v88, -0.5, v52, v48
	v_add_f32_e32 v62, v62, v80
	v_mul_f32_e32 v89, -0.5, v2
	v_mul_f32_e32 v91, -0.5, v61
	v_add_f32_e32 v55, v55, v140
	v_mul_f32_e32 v94, 0xbf5db3d7, v63
	v_fmac_f32_e32 v10, 0.5, v63
	v_add_f32_e32 v80, v47, v138
	v_fmamk_f32 v82, v51, 0xbf5db3d7, v88
	v_fmac_f32_e32 v88, 0x3f5db3d7, v51
	v_fmac_f32_e32 v89, 0x3f5db3d7, v61
	v_fmac_f32_e32 v91, 0xbf5db3d7, v2
	v_add_f32_e32 v60, v60, v54
	v_sub_f32_e32 v48, v62, v55
	v_fmac_f32_e32 v94, 0.5, v79
	v_add_f32_e32 v61, v62, v55
	v_add_f32_e32 v62, v78, v10
	v_sub_f32_e32 v78, v78, v10
	v_add_f32_e32 v10, v86, v139
	v_add_f32_e32 v2, v83, v89
	;; [unrolled: 1-line block ×3, first 2 shown]
	v_sub_f32_e32 v47, v80, v60
	v_add_f32_e32 v60, v80, v60
	v_add_f32_e32 v63, v82, v94
	v_sub_f32_e32 v79, v82, v94
	v_sub_f32_e32 v82, v83, v89
	;; [unrolled: 1-line block ×3, first 2 shown]
	v_add_f32_e32 v80, v84, v44
	v_add_f32_e32 v88, v49, v86
	;; [unrolled: 1-line block ×3, first 2 shown]
	v_fma_f32 v49, -0.5, v10, v49
	v_sub_f32_e32 v10, v84, v44
	v_add_f32_e32 v84, v90, v92
	v_add_f32_e32 v91, v45, v46
	ds_read2_b64 v[51:54], v70 offset0:112 offset1:232
	v_add_f32_e32 v94, v85, v90
	v_sub_f32_e32 v90, v90, v92
	v_fmac_f32_e32 v85, -0.5, v84
	v_sub_f32_e32 v84, v45, v46
	v_add_f32_e32 v45, v87, v45
	v_fmac_f32_e32 v87, -0.5, v91
	v_fmac_f32_e32 v50, -0.5, v80
	v_add_f32_e32 v80, v88, v139
	v_fmamk_f32 v88, v10, 0x3f5db3d7, v49
	v_fmac_f32_e32 v49, 0xbf5db3d7, v10
	v_fmamk_f32 v91, v84, 0x3f5db3d7, v85
	v_fmac_f32_e32 v85, 0xbf5db3d7, v84
	;; [unrolled: 2-line block ×3, first 2 shown]
	v_mov_b32_e32 v10, 0x12c0
	v_sub_f32_e32 v86, v86, v139
	v_mul_f32_e32 v96, -0.5, v85
	v_mul_f32_e32 v98, 0xbf5db3d7, v91
	v_mul_f32_e32 v97, -0.5, v87
	v_mul_u32_u24_sdwa v9, v9, v10 dst_sel:DWORD dst_unused:UNUSED_PAD src0_sel:WORD_0 src1_sel:DWORD
	v_lshlrev_b32_sdwa v10, v81, v19 dst_sel:DWORD dst_unused:UNUSED_PAD src0_sel:DWORD src1_sel:BYTE_0
	v_add_f32_e32 v19, v94, v92
	v_mul_f32_e32 v94, 0x3f5db3d7, v84
	v_add_f32_e32 v89, v89, v44
	v_fmamk_f32 v90, v86, 0xbf5db3d7, v50
	v_fmac_f32_e32 v50, 0x3f5db3d7, v86
	v_fmac_f32_e32 v96, 0x3f5db3d7, v87
	v_add_f32_e32 v46, v45, v46
	v_fmac_f32_e32 v97, 0xbf5db3d7, v85
	v_add3_u32 v92, 0, v9, v10
	v_fmac_f32_e32 v94, 0.5, v91
	v_fmac_f32_e32 v98, 0.5, v84
	v_add_nc_u32_e32 v95, 0x400, v93
	v_sub_f32_e32 v44, v80, v19
	v_add_f32_e32 v84, v80, v19
	s_waitcnt lgkmcnt(0)
	v_add_f32_e32 v19, v52, v41
	v_add_nc_u32_e32 v55, 0x800, v93
	v_add_f32_e32 v9, v49, v96
	v_add_f32_e32 v10, v50, v97
	v_sub_f32_e32 v45, v89, v46
	v_add_nc_u32_e32 v91, 0x400, v92
	v_add_f32_e32 v85, v89, v46
	v_add_f32_e32 v86, v88, v94
	;; [unrolled: 1-line block ×3, first 2 shown]
	s_barrier
	buffer_gl0_inv
	ds_write2_b64 v95, v[2:3], v[47:48] offset0:72 offset1:172
	ds_write2_b64 v93, v[60:61], v[62:63] offset1:100
	ds_write2_b64 v55, v[78:79], v[82:83] offset0:144 offset1:244
	ds_write2_b64 v91, v[9:10], v[44:45] offset0:72 offset1:172
	ds_write2_b64 v92, v[84:85], v[86:87] offset1:100
	v_add_f32_e32 v45, v19, v37
	v_add_f32_e32 v19, v36, v38
	;; [unrolled: 1-line block ×3, first 2 shown]
	v_sub_f32_e32 v2, v49, v96
	v_add_f32_e32 v47, v51, v43
	v_add_f32_e32 v49, v31, v36
	v_fmac_f32_e32 v31, -0.5, v19
	v_add_f32_e32 v19, v32, v40
	v_sub_f32_e32 v40, v40, v42
	v_fmac_f32_e32 v32, -0.5, v48
	v_sub_f32_e32 v48, v36, v38
	v_sub_f32_e32 v3, v50, v97
	;; [unrolled: 1-line block ×3, first 2 shown]
	v_add_f32_e32 v36, v41, v37
	v_add_f32_e32 v41, v47, v39
	;; [unrolled: 1-line block ×3, first 2 shown]
	v_fmamk_f32 v47, v40, 0xbf5db3d7, v31
	v_fmamk_f32 v50, v48, 0x3f5db3d7, v32
	v_sub_f32_e32 v39, v43, v39
	v_add_f32_e32 v38, v49, v38
	v_fma_f32 v51, -0.5, v37, v51
	v_mul_f32_e32 v43, 0x3f5db3d7, v47
	v_mul_f32_e32 v49, 0xbf5db3d7, v50
	v_fma_f32 v52, -0.5, v36, v52
	v_mul_f32_e32 v18, v110, v131
	v_mul_f32_e32 v14, v112, v133
	v_add_f32_e32 v42, v19, v42
	v_fmac_f32_e32 v43, 0.5, v50
	v_fmac_f32_e32 v49, 0.5, v47
	v_fmamk_f32 v47, v46, 0x3f5db3d7, v51
	v_fmamk_f32 v55, v39, 0xbf5db3d7, v52
	v_mul_f32_e32 v20, v113, v133
	v_fmac_f32_e32 v18, v111, v130
	v_fmac_f32_e32 v14, v113, v132
	v_sub_f32_e32 v9, v88, v94
	v_sub_f32_e32 v10, v90, v98
	v_add_nc_u32_e32 v44, 0x800, v92
	v_add3_u32 v50, 0, v11, v12
	v_add_f32_e32 v11, v41, v42
	v_add_f32_e32 v12, v45, v38
	;; [unrolled: 1-line block ×4, first 2 shown]
	v_fma_f32 v20, v112, v132, -v20
	v_add_f32_e32 v19, v29, v18
	ds_write2_b64 v44, v[9:10], v[2:3] offset0:144 offset1:244
	ds_write2_b64 v50, v[11:12], v[36:37] offset1:100
	v_add_f32_e32 v9, v27, v14
	v_add_f32_e32 v60, v26, v16
	;; [unrolled: 1-line block ×4, first 2 shown]
	v_fmac_f32_e32 v24, -0.5, v19
	v_sub_f32_e32 v19, v35, v25
	v_add_f32_e32 v12, v33, v20
	v_add_f32_e32 v44, v15, v27
	v_fmac_f32_e32 v15, -0.5, v9
	v_sub_f32_e32 v9, v33, v20
	v_add_f32_e32 v63, v54, v26
	v_add_f32_e32 v35, v28, v35
	v_fmac_f32_e32 v28, -0.5, v61
	v_sub_f32_e32 v29, v29, v18
	v_fmamk_f32 v61, v19, 0xbf5db3d7, v24
	v_fmac_f32_e32 v24, 0x3f5db3d7, v19
	v_fmac_f32_e32 v54, -0.5, v60
	v_sub_f32_e32 v19, v34, v23
	v_add_f32_e32 v10, v17, v13
	v_add_f32_e32 v79, v22, v33
	v_fmac_f32_e32 v22, -0.5, v12
	v_sub_f32_e32 v12, v27, v14
	v_fmamk_f32 v80, v9, 0xbf5db3d7, v15
	v_fmac_f32_e32 v15, 0x3f5db3d7, v9
	v_fmamk_f32 v60, v29, 0x3f5db3d7, v28
	v_fmac_f32_e32 v28, 0xbf5db3d7, v29
	v_mul_f32_e32 v29, -0.5, v24
	v_fmamk_f32 v3, v19, 0xbf5db3d7, v54
	v_fmac_f32_e32 v54, 0x3f5db3d7, v19
	v_add_f32_e32 v2, v34, v23
	v_add_f32_e32 v78, v1, v17
	v_fmac_f32_e32 v1, -0.5, v10
	v_sub_f32_e32 v9, v30, v21
	v_fmamk_f32 v82, v12, 0x3f5db3d7, v22
	v_fmac_f32_e32 v22, 0xbf5db3d7, v12
	v_mul_f32_e32 v19, -0.5, v15
	v_fmac_f32_e32 v29, 0xbf5db3d7, v28
	v_add_f32_e32 v11, v53, v34
	v_fma_f32 v36, -0.5, v2, v53
	v_fmamk_f32 v53, v9, 0xbf5db3d7, v1
	v_fmac_f32_e32 v1, 0x3f5db3d7, v9
	v_add_f32_e32 v9, v30, v21
	v_fmac_f32_e32 v19, 0xbf5db3d7, v22
	v_fmac_f32_e32 v32, 0xbf5db3d7, v48
	;; [unrolled: 1-line block ×3, first 2 shown]
	v_add_f32_e32 v2, v54, v29
	v_sub_f32_e32 v10, v54, v29
	v_add_f32_e32 v54, v0, v30
	v_fma_f32 v0, -0.5, v9, v0
	v_add_f32_e32 v12, v1, v19
	v_sub_f32_e32 v19, v1, v19
	v_mul_f32_e32 v1, -0.5, v32
	v_mul_f32_e32 v9, -0.5, v31
	v_sub_f32_e32 v26, v26, v16
	v_mul_f32_e32 v28, -0.5, v28
	v_fmac_f32_e32 v51, 0xbf5db3d7, v46
	v_fmac_f32_e32 v52, 0x3f5db3d7, v39
	;; [unrolled: 1-line block ×4, first 2 shown]
	v_fmamk_f32 v39, v26, 0x3f5db3d7, v36
	v_fmac_f32_e32 v36, 0xbf5db3d7, v26
	v_fmac_f32_e32 v28, 0x3f5db3d7, v24
	v_add_f32_e32 v11, v11, v23
	v_add_f32_e32 v16, v63, v16
	;; [unrolled: 1-line block ×6, first 2 shown]
	v_sub_f32_e32 v31, v51, v1
	v_sub_f32_e32 v32, v52, v9
	v_add_f32_e32 v1, v36, v28
	v_sub_f32_e32 v9, v36, v28
	v_add_f32_e32 v23, v11, v25
	v_add_f32_e32 v24, v16, v18
	v_sub_f32_e32 v35, v11, v25
	v_sub_f32_e32 v36, v16, v18
	;; [unrolled: 1-line block ×3, first 2 shown]
	v_mul_f32_e32 v18, -0.5, v22
	v_sub_f32_e32 v29, v41, v42
	v_mul_f32_e32 v41, 0xbf5db3d7, v60
	v_mul_f32_e32 v40, 0x3f5db3d7, v61
	v_fmamk_f32 v22, v11, 0x3f5db3d7, v0
	v_fmac_f32_e32 v0, 0xbf5db3d7, v11
	v_fmac_f32_e32 v18, 0x3f5db3d7, v15
	v_fmac_f32_e32 v41, 0.5, v61
	v_fmac_f32_e32 v40, 0.5, v60
	v_sub_f32_e32 v30, v45, v38
	v_add_f32_e32 v15, v79, v20
	v_add_f32_e32 v11, v0, v18
	v_sub_f32_e32 v18, v0, v18
	v_mul_u32_u24_e32 v0, 0x12c0, v6
	v_lshlrev_b32_sdwa v6, v81, v7 dst_sel:DWORD dst_unused:UNUSED_PAD src0_sel:DWORD src1_sel:WORD_0
	v_add_f32_e32 v38, v3, v41
	v_sub_f32_e32 v17, v3, v41
	v_add_f32_e32 v3, v54, v21
	v_add_f32_e32 v37, v39, v40
	v_mul_f32_e32 v25, 0x3f5db3d7, v80
	v_mul_f32_e32 v41, 0xbf5db3d7, v82
	v_add_nc_u32_e32 v7, 0x400, v50
	v_add3_u32 v0, 0, v0, v6
	v_mul_u32_u24_e32 v6, 0x12c0, v4
	v_sub_f32_e32 v33, v47, v43
	v_sub_f32_e32 v34, v55, v49
	v_add_f32_e32 v21, v78, v13
	v_add_f32_e32 v13, v3, v15
	v_sub_f32_e32 v20, v3, v15
	v_add_nc_u32_e32 v15, 0x800, v50
	v_sub_f32_e32 v16, v39, v40
	v_add_f32_e32 v28, v44, v14
	v_fmac_f32_e32 v25, 0.5, v82
	v_fmac_f32_e32 v41, 0.5, v80
	ds_write2_b64 v7, v[26:27], v[29:30] offset0:72 offset1:172
	ds_write2_b64 v15, v[33:34], v[31:32] offset0:144 offset1:244
	v_add_nc_u32_e32 v7, 0x400, v0
	v_add3_u32 v5, 0, v6, v5
	ds_write2_b64 v0, v[23:24], v[37:38] offset1:100
	v_add_nc_u32_e32 v0, 0x800, v0
	v_mul_u32_u24_e32 v6, 5, v56
	v_add_f32_e32 v14, v21, v28
	v_add_f32_e32 v39, v22, v25
	;; [unrolled: 1-line block ×3, first 2 shown]
	ds_write2_b64 v0, v[16:17], v[9:10] offset0:144 offset1:244
	v_lshlrev_b32_e32 v0, 3, v6
	v_sub_f32_e32 v21, v21, v28
	ds_write2_b64 v7, v[1:2], v[35:36] offset0:72 offset1:172
	v_add_nc_u32_e32 v1, 0x400, v5
	v_sub_f32_e32 v3, v22, v25
	v_sub_f32_e32 v4, v53, v41
	v_add_nc_u32_e32 v2, 0x800, v5
	ds_write2_b64 v5, v[13:14], v[39:40] offset1:100
	ds_write2_b64 v1, v[11:12], v[20:21] offset0:72 offset1:172
	ds_write2_b64 v2, v[3:4], v[18:19] offset0:144 offset1:244
	v_add_nc_u32_e32 v1, 0x4b00, v0
	v_add_co_u32 v13, s0, s8, v0
	v_add_co_ci_u32_e64 v16, null, s9, 0, s0
	v_add_co_u32 v31, s0, s8, v1
	v_add_co_ci_u32_e64 v32, null, s9, 0, s0
	v_add_co_u32 v9, s0, 0x1270, v13
	v_add_co_ci_u32_e64 v10, s0, 0, v16, s0
	v_add_co_u32 v11, s0, 0x1270, v31
	v_add_co_ci_u32_e64 v12, s0, 0, v32, s0
	v_add_co_u32 v21, s0, 0x4ab0, v13
	s_waitcnt lgkmcnt(0)
	s_barrier
	buffer_gl0_inv
	s_clause 0x1
	global_load_dwordx2 v[14:15], v[9:10], off offset:32
	global_load_dwordx4 v[0:3], v[11:12], off offset:16
	v_add_co_ci_u32_e64 v22, s0, 0, v16, s0
	v_add_co_u32 v23, s0, 0x37f0, v13
	v_add_co_ci_u32_e64 v24, s0, 0, v16, s0
	global_load_dwordx4 v[4:7], v[21:22], off offset:16
	v_add_co_u32 v25, s0, 0x2530, v13
	v_add_co_ci_u32_e64 v26, s0, 0, v16, s0
	s_clause 0x6
	global_load_dwordx4 v[17:20], v[23:24], off offset:16
	global_load_dwordx2 v[86:87], v[25:26], off offset:32
	global_load_dwordx2 v[90:91], v[23:24], off offset:32
	;; [unrolled: 1-line block ×4, first 2 shown]
	global_load_dwordx4 v[27:30], v[25:26], off offset:16
	global_load_dwordx4 v[34:37], v[9:10], off offset:16
	v_add_co_u32 v9, s0, 0x1000, v31
	v_add_co_ci_u32_e64 v10, s0, 0, v32, s0
	global_load_dwordx4 v[39:42], v[9:10], off offset:624
	v_add_co_u32 v9, s0, 0x4800, v13
	v_add_co_ci_u32_e64 v10, s0, 0, v16, s0
	;; [unrolled: 3-line block ×3, first 2 shown]
	v_add_co_u32 v11, s0, 0x2000, v13
	v_add_co_ci_u32_e64 v12, s0, 0, v16, s0
	s_clause 0x1
	global_load_dwordx4 v[47:50], v[9:10], off offset:2032
	global_load_dwordx4 v[51:54], v[11:12], off offset:1328
	v_add_co_u32 v9, s0, 0x1000, v13
	v_add_co_ci_u32_e64 v10, s0, 0, v16, s0
	global_load_dwordx4 v[60:63], v[9:10], off offset:624
	ds_read2_b64 v[10:13], v65 offset0:64 offset1:184
	ds_read2_b64 v[21:24], v57 offset0:112 offset1:232
	;; [unrolled: 1-line block ×4, first 2 shown]
	s_waitcnt vmcnt(14) lgkmcnt(3)
	v_mul_f32_e32 v16, v13, v15
	v_mul_f32_e32 v55, v12, v15
	s_waitcnt vmcnt(13)
	v_mul_f32_e32 v15, v11, v3
	v_mul_f32_e32 v9, v10, v3
	s_waitcnt lgkmcnt(2)
	v_mul_f32_e32 v3, v24, v1
	v_mul_f32_e32 v25, v23, v1
	v_fmac_f32_e32 v55, v13, v14
	v_fma_f32 v10, v10, v2, -v15
	v_fmac_f32_e32 v9, v11, v2
	s_waitcnt vmcnt(12)
	v_mul_f32_e32 v11, v22, v5
	v_fma_f32 v26, v23, v0, -v3
	v_fmac_f32_e32 v25, v24, v0
	v_mul_f32_e32 v31, v21, v5
	ds_read2_b64 v[0:3], v76 offset0:32 offset1:152
	s_waitcnt lgkmcnt(2)
	v_mul_f32_e32 v5, v81, v7
	v_mul_f32_e32 v13, v80, v7
	v_fma_f32 v96, v12, v14, -v16
	v_fma_f32 v33, v21, v4, -v11
	v_fmac_f32_e32 v31, v22, v4
	s_waitcnt vmcnt(11)
	v_mul_f32_e32 v11, v79, v20
	v_fma_f32 v14, v80, v6, -v5
	v_fmac_f32_e32 v13, v81, v6
	v_mul_f32_e32 v20, v78, v20
	ds_read2_b64 v[4:7], v71 offset0:128 offset1:248
	s_waitcnt vmcnt(10) lgkmcnt(2)
	v_mul_f32_e32 v12, v83, v87
	v_mul_f32_e32 v97, v82, v87
	v_fma_f32 v21, v78, v19, -v11
	s_waitcnt vmcnt(9)
	v_mul_f32_e32 v11, v85, v91
	v_fmac_f32_e32 v20, v79, v19
	v_mul_f32_e32 v22, v84, v91
	ds_read2_b64 v[78:81], v74 offset0:96 offset1:216
	v_fma_f32 v98, v82, v86, -v12
	v_fmac_f32_e32 v97, v83, v86
	v_fma_f32 v23, v84, v90, -v11
	ds_read2_b64 v[86:89], v68 offset0:16 offset1:136
	v_fmac_f32_e32 v22, v85, v90
	ds_read2_b64 v[82:85], v69 offset0:64 offset1:184
	s_waitcnt vmcnt(8) lgkmcnt(4)
	v_mul_f32_e32 v12, v1, v93
	v_mul_f32_e32 v15, v0, v93
	s_waitcnt vmcnt(7)
	v_mul_f32_e32 v19, v3, v95
	v_mul_f32_e32 v11, v2, v95
	v_fma_f32 v16, v0, v92, -v12
	v_fmac_f32_e32 v15, v1, v92
	s_waitcnt lgkmcnt(3)
	v_mul_f32_e32 v0, v7, v18
	s_waitcnt vmcnt(6)
	v_mul_f32_e32 v1, v5, v28
	ds_read2_b64 v[90:93], v66 offset0:32 offset1:152
	v_mul_f32_e32 v38, v6, v18
	v_fma_f32 v12, v2, v94, -v19
	v_fma_f32 v95, v6, v17, -v0
	;; [unrolled: 1-line block ×3, first 2 shown]
	s_waitcnt lgkmcnt(3)
	v_mul_f32_e32 v0, v81, v30
	v_mul_f32_e32 v100, v80, v30
	s_waitcnt vmcnt(5)
	v_mul_f32_e32 v1, v79, v37
	v_mul_f32_e32 v101, v78, v37
	v_fmac_f32_e32 v38, v7, v17
	s_waitcnt lgkmcnt(2)
	v_mul_f32_e32 v2, v35, v89
	v_fma_f32 v102, v80, v29, -v0
	v_fmac_f32_e32 v100, v81, v29
	v_fma_f32 v103, v78, v36, -v1
	v_fmac_f32_e32 v101, v79, v36
	s_waitcnt vmcnt(4)
	v_mul_f32_e32 v0, v87, v42
	v_mul_f32_e32 v18, v86, v42
	ds_read2_b64 v[78:81], v67 offset0:80 offset1:200
	s_waitcnt lgkmcnt(2)
	v_mul_f32_e32 v1, v85, v40
	v_mul_f32_e32 v17, v84, v40
	v_fmac_f32_e32 v11, v3, v94
	v_mul_f32_e32 v94, v4, v28
	v_fma_f32 v104, v34, v88, -v2
	v_fma_f32 v32, v86, v41, -v0
	v_fmac_f32_e32 v18, v87, v41
	v_fma_f32 v19, v84, v39, -v1
	v_fmac_f32_e32 v17, v85, v39
	ds_read2_b64 v[39:42], v73 offset0:48 offset1:168
	ds_read2_b64 v[0:3], v75 offset0:96 offset1:216
	v_fmac_f32_e32 v94, v5, v27
	v_mul_f32_e32 v88, v35, v88
	s_waitcnt vmcnt(3)
	v_mul_f32_e32 v4, v83, v44
	s_waitcnt lgkmcnt(3)
	v_mul_f32_e32 v5, v93, v46
	v_mul_f32_e32 v24, v82, v44
	s_waitcnt vmcnt(2)
	v_mul_f32_e32 v30, v91, v50
	v_fmac_f32_e32 v88, v34, v89
	v_fma_f32 v28, v82, v43, -v4
	v_fma_f32 v34, v92, v45, -v5
	ds_read2_b64 v[4:7], v64 offset1:120
	v_fmac_f32_e32 v24, v83, v43
	v_mul_f32_e32 v36, v90, v50
	s_waitcnt lgkmcnt(3)
	v_mul_f32_e32 v35, v81, v48
	v_mul_f32_e32 v29, v80, v48
	s_waitcnt vmcnt(1)
	v_mul_f32_e32 v43, v79, v52
	v_fma_f32 v37, v90, v49, -v30
	v_fmac_f32_e32 v36, v91, v49
	v_fma_f32 v30, v80, v47, -v35
	v_fmac_f32_e32 v29, v81, v47
	v_fma_f32 v47, v78, v51, -v43
	v_mul_f32_e32 v48, v78, v52
	s_waitcnt vmcnt(0) lgkmcnt(2)
	v_mul_f32_e32 v43, v63, v40
	v_mul_f32_e32 v49, v63, v39
	s_waitcnt lgkmcnt(1)
	v_mul_f32_e32 v44, v61, v3
	v_mul_f32_e32 v35, v42, v54
	v_fmac_f32_e32 v48, v79, v51
	v_fma_f32 v51, v62, v39, -v43
	v_fmac_f32_e32 v49, v62, v40
	v_fma_f32 v52, v60, v2, -v44
	v_mul_f32_e32 v61, v61, v2
	v_mul_f32_e32 v54, v41, v54
	v_fma_f32 v50, v41, v53, -v35
	s_waitcnt lgkmcnt(0)
	v_add_f32_e32 v35, v5, v49
	v_add_f32_e32 v39, v52, v104
	v_fmac_f32_e32 v61, v60, v3
	v_fmac_f32_e32 v54, v42, v53
	v_add_f32_e32 v53, v51, v103
	v_add_f32_e32 v2, v4, v51
	;; [unrolled: 1-line block ×5, first 2 shown]
	v_fma_f32 v81, -0.5, v53, v4
	v_sub_f32_e32 v4, v49, v101
	v_add_f32_e32 v53, v104, v96
	v_add_f32_e32 v60, v88, v55
	;; [unrolled: 1-line block ×4, first 2 shown]
	v_sub_f32_e32 v51, v51, v103
	v_fmac_f32_e32 v52, -0.5, v53
	v_sub_f32_e32 v53, v88, v55
	v_fmac_f32_e32 v61, -0.5, v60
	v_sub_f32_e32 v55, v104, v96
	v_fma_f32 v83, -0.5, v49, v5
	v_add_f32_e32 v40, v6, v50
	v_add_f32_e32 v41, v47, v99
	;; [unrolled: 1-line block ×3, first 2 shown]
	v_fmamk_f32 v82, v4, 0x3f5db3d7, v81
	v_fmamk_f32 v60, v53, 0x3f5db3d7, v52
	;; [unrolled: 1-line block ×3, first 2 shown]
	v_fmac_f32_e32 v61, 0x3f5db3d7, v55
	v_fmac_f32_e32 v81, 0xbf5db3d7, v4
	v_fmamk_f32 v55, v51, 0xbf5db3d7, v83
	v_fmac_f32_e32 v83, 0x3f5db3d7, v51
	v_add_f32_e32 v4, v50, v102
	v_add_f32_e32 v5, v99, v98
	;; [unrolled: 1-line block ×7, first 2 shown]
	ds_read2_b64 v[39:42], v70 offset0:112 offset1:232
	v_fmac_f32_e32 v52, 0xbf5db3d7, v53
	v_mul_f32_e32 v85, -0.5, v61
	v_fma_f32 v86, -0.5, v4, v6
	v_fmac_f32_e32 v47, -0.5, v5
	v_sub_f32_e32 v4, v94, v97
	v_fmac_f32_e32 v48, -0.5, v51
	v_sub_f32_e32 v5, v99, v98
	v_mul_f32_e32 v90, 0xbf5db3d7, v60
	v_mul_f32_e32 v27, v92, v46
	v_mul_f32_e32 v84, -0.5, v52
	v_fmac_f32_e32 v85, 0xbf5db3d7, v52
	v_fmamk_f32 v52, v4, 0x3f5db3d7, v47
	v_fmac_f32_e32 v47, 0xbf5db3d7, v4
	v_fmamk_f32 v53, v5, 0xbf5db3d7, v48
	v_sub_f32_e32 v4, v50, v102
	v_mul_f32_e32 v89, 0x3f5db3d7, v49
	v_fmac_f32_e32 v90, 0.5, v49
	v_add_f32_e32 v49, v95, v23
	v_add_f32_e32 v50, v38, v22
	v_fmac_f32_e32 v27, v93, v45
	v_fmac_f32_e32 v84, 0x3f5db3d7, v61
	v_add_f32_e32 v51, v54, v100
	v_fmac_f32_e32 v89, 0.5, v60
	v_mul_f32_e32 v60, 0x3f5db3d7, v53
	v_mul_f32_e32 v61, 0xbf5db3d7, v52
	v_add_f32_e32 v91, v30, v95
	v_fmac_f32_e32 v30, -0.5, v49
	v_add_f32_e32 v92, v29, v38
	v_fmac_f32_e32 v29, -0.5, v50
	v_sub_f32_e32 v93, v95, v23
	v_sub_f32_e32 v94, v38, v22
	v_fmac_f32_e32 v48, 0x3f5db3d7, v5
	v_fmac_f32_e32 v7, -0.5, v51
	v_fmac_f32_e32 v60, 0.5, v52
	v_fmac_f32_e32 v61, 0.5, v53
	v_fmamk_f32 v38, v93, 0xbf5db3d7, v29
	v_fmamk_f32 v52, v94, 0x3f5db3d7, v30
	v_add_f32_e32 v51, v37, v21
	v_add_f32_e32 v53, v36, v20
	v_sub_f32_e32 v6, v54, v100
	v_mul_f32_e32 v87, -0.5, v47
	v_mul_f32_e32 v88, -0.5, v48
	v_add_f32_e32 v80, v43, v97
	v_mul_f32_e32 v95, 0x3f5db3d7, v38
	v_mul_f32_e32 v96, 0xbf5db3d7, v52
	s_waitcnt lgkmcnt(0)
	v_fma_f32 v97, -0.5, v51, v39
	v_fma_f32 v98, -0.5, v53, v40
	v_sub_f32_e32 v99, v36, v20
	v_sub_f32_e32 v100, v37, v21
	v_add_f32_e32 v2, v2, v103
	v_fmamk_f32 v54, v6, 0x3f5db3d7, v86
	v_fmac_f32_e32 v86, 0xbf5db3d7, v6
	v_fmamk_f32 v6, v4, 0xbf5db3d7, v7
	v_fmac_f32_e32 v7, 0x3f5db3d7, v4
	v_fmac_f32_e32 v87, 0x3f5db3d7, v48
	;; [unrolled: 1-line block ×3, first 2 shown]
	v_fmac_f32_e32 v95, 0.5, v52
	v_fmac_f32_e32 v96, 0.5, v38
	v_fmamk_f32 v101, v99, 0x3f5db3d7, v97
	v_fmamk_f32 v102, v100, 0xbf5db3d7, v98
	v_add_f32_e32 v43, v2, v35
	v_add_f32_e32 v44, v3, v62
	;; [unrolled: 1-line block ×8, first 2 shown]
	v_sub_f32_e32 v49, v82, v89
	v_sub_f32_e32 v50, v55, v90
	;; [unrolled: 1-line block ×4, first 2 shown]
	v_add_f32_e32 v53, v54, v60
	v_add_f32_e32 v54, v6, v61
	;; [unrolled: 1-line block ×4, first 2 shown]
	s_barrier
	buffer_gl0_inv
	ds_write2_b64 v64, v[43:44], v[45:46] offset1:120
	ds_write2_b64 v73, v[4:5], v[47:48] offset0:48 offset1:168
	ds_write2_b64 v74, v[49:50], v[51:52] offset0:96 offset1:216
	;; [unrolled: 1-line block ×3, first 2 shown]
	v_add_f32_e32 v5, v27, v13
	v_add_f32_e32 v6, v33, v16
	;; [unrolled: 1-line block ×5, first 2 shown]
	v_fmac_f32_e32 v42, -0.5, v5
	v_add_f32_e32 v5, v28, v33
	v_fmac_f32_e32 v28, -0.5, v6
	v_sub_f32_e32 v6, v31, v15
	v_sub_f32_e32 v31, v34, v14
	v_fmac_f32_e32 v24, -0.5, v4
	v_sub_f32_e32 v4, v33, v16
	v_add_f32_e32 v40, v40, v36
	v_add_f32_e32 v36, v26, v12
	v_fmamk_f32 v46, v31, 0xbf5db3d7, v42
	v_fmac_f32_e32 v42, 0x3f5db3d7, v31
	v_add_f32_e32 v31, v25, v11
	v_add_f32_e32 v48, v17, v25
	v_fmamk_f32 v45, v4, 0xbf5db3d7, v24
	v_fmac_f32_e32 v24, 0x3f5db3d7, v4
	v_sub_f32_e32 v4, v7, v88
	v_fmac_f32_e32 v17, -0.5, v31
	v_sub_f32_e32 v31, v26, v12
	v_fmamk_f32 v7, v6, 0x3f5db3d7, v28
	v_fmac_f32_e32 v28, 0xbf5db3d7, v6
	v_add_f32_e32 v6, v34, v14
	v_add_f32_e32 v47, v41, v34
	;; [unrolled: 1-line block ×4, first 2 shown]
	v_fmac_f32_e32 v19, -0.5, v36
	v_sub_f32_e32 v25, v25, v11
	v_fmamk_f32 v51, v31, 0xbf5db3d7, v17
	v_fmac_f32_e32 v17, 0x3f5db3d7, v31
	v_add_f32_e32 v49, v1, v18
	v_fmac_f32_e32 v1, -0.5, v34
	v_sub_f32_e32 v26, v32, v10
	v_fmamk_f32 v52, v25, 0x3f5db3d7, v19
	v_fmac_f32_e32 v19, 0xbf5db3d7, v25
	v_mul_f32_e32 v34, -0.5, v17
	v_mul_f32_e32 v33, -0.5, v24
	v_add_f32_e32 v39, v39, v37
	v_fmamk_f32 v54, v26, 0xbf5db3d7, v1
	v_fmac_f32_e32 v1, 0x3f5db3d7, v26
	v_fmac_f32_e32 v34, 0xbf5db3d7, v19
	;; [unrolled: 1-line block ×3, first 2 shown]
	v_add_f32_e32 v26, v32, v10
	v_add_f32_e32 v23, v91, v23
	v_fmac_f32_e32 v30, 0xbf5db3d7, v94
	v_add_f32_e32 v31, v1, v34
	v_sub_f32_e32 v1, v1, v34
	v_sub_f32_e32 v34, v2, v35
	v_add_f32_e32 v2, v39, v21
	v_fmac_f32_e32 v29, 0x3f5db3d7, v93
	v_fma_f32 v53, -0.5, v6, v41
	v_add_f32_e32 v6, v42, v33
	v_sub_f32_e32 v25, v42, v33
	v_add_f32_e32 v60, v0, v32
	v_fma_f32 v0, -0.5, v26, v0
	v_add_f32_e32 v26, v40, v20
	v_add_f32_e32 v40, v92, v22
	;; [unrolled: 1-line block ×3, first 2 shown]
	v_sub_f32_e32 v22, v2, v23
	v_mul_f32_e32 v2, -0.5, v30
	v_mul_f32_e32 v42, -0.5, v29
	v_fmac_f32_e32 v97, 0xbf5db3d7, v99
	v_add_f32_e32 v47, v47, v14
	v_add_f32_e32 v16, v5, v16
	v_fmac_f32_e32 v2, 0x3f5db3d7, v29
	v_fmac_f32_e32 v42, 0xbf5db3d7, v30
	v_sub_f32_e32 v29, v27, v13
	v_mul_f32_e32 v30, -0.5, v28
	v_add_f32_e32 v21, v26, v40
	v_sub_f32_e32 v23, v26, v40
	v_add_f32_e32 v26, v97, v2
	v_sub_f32_e32 v28, v97, v2
	v_fmamk_f32 v2, v29, 0x3f5db3d7, v53
	v_fmac_f32_e32 v53, 0xbf5db3d7, v29
	v_fmac_f32_e32 v30, 0x3f5db3d7, v24
	v_add_f32_e32 v43, v43, v13
	v_add_f32_e32 v44, v44, v15
	;; [unrolled: 1-line block ×3, first 2 shown]
	v_sub_f32_e32 v15, v47, v16
	v_mul_f32_e32 v47, 0xbf5db3d7, v7
	v_add_f32_e32 v5, v53, v30
	v_sub_f32_e32 v24, v53, v30
	v_mul_f32_e32 v30, 0x3f5db3d7, v45
	v_sub_f32_e32 v18, v18, v9
	v_fmac_f32_e32 v47, 0.5, v45
	v_fmac_f32_e32 v98, 0x3f5db3d7, v100
	v_add_f32_e32 v14, v43, v44
	v_sub_f32_e32 v16, v43, v44
	v_mul_f32_e32 v19, -0.5, v19
	v_fmac_f32_e32 v30, 0.5, v7
	v_fmamk_f32 v7, v18, 0x3f5db3d7, v0
	v_fmac_f32_e32 v0, 0xbf5db3d7, v18
	v_add_f32_e32 v18, v46, v47
	v_sub_f32_e32 v43, v46, v47
	v_mul_f32_e32 v46, 0x3f5db3d7, v51
	v_mul_f32_e32 v47, 0xbf5db3d7, v52
	v_sub_f32_e32 v38, v63, v78
	v_sub_f32_e32 v39, v79, v80
	v_add_f32_e32 v27, v98, v42
	v_sub_f32_e32 v29, v98, v42
	v_fmac_f32_e32 v19, 0x3f5db3d7, v17
	v_add_f32_e32 v17, v2, v30
	v_sub_f32_e32 v42, v2, v30
	v_add_f32_e32 v2, v60, v10
	v_add_f32_e32 v44, v49, v9
	;; [unrolled: 1-line block ×4, first 2 shown]
	v_fmac_f32_e32 v46, 0.5, v52
	v_fmac_f32_e32 v47, 0.5, v51
	v_sub_f32_e32 v35, v3, v62
	v_sub_f32_e32 v3, v86, v87
	;; [unrolled: 1-line block ×4, first 2 shown]
	v_add_f32_e32 v32, v82, v89
	v_add_f32_e32 v33, v55, v90
	v_sub_f32_e32 v36, v81, v84
	v_sub_f32_e32 v37, v83, v85
	v_add_f32_e32 v30, v0, v19
	v_sub_f32_e32 v0, v0, v19
	v_add_f32_e32 v9, v2, v12
	v_add_f32_e32 v10, v44, v45
	v_sub_f32_e32 v11, v2, v12
	v_sub_f32_e32 v12, v44, v45
	v_add_f32_e32 v44, v7, v46
	v_add_f32_e32 v45, v54, v47
	v_sub_f32_e32 v46, v7, v46
	v_sub_f32_e32 v47, v54, v47
	ds_write2_b64 v71, v[38:39], v[22:23] offset0:128 offset1:248
	ds_write2_b64 v72, v[3:4], v[28:29] offset0:48 offset1:168
	ds_write2_b64 v70, v[20:21], v[13:14] offset0:112 offset1:232
	ds_write2_b64 v66, v[26:27], v[5:6] offset0:32 offset1:152
	ds_write2_b64 v77, v[40:41], v[42:43] offset0:80 offset1:200
	ds_write2_b64 v75, v[9:10], v[32:33] offset0:96 offset1:216
	ds_write2_b64 v69, v[17:18], v[44:45] offset0:64 offset1:184
	ds_write2_b64 v68, v[30:31], v[34:35] offset0:16 offset1:136
	ds_write2_b64 v57, v[15:16], v[11:12] offset0:112 offset1:232
	ds_write2_b64 v65, v[46:47], v[36:37] offset0:64 offset1:184
	ds_write2_b64 v76, v[24:25], v[0:1] offset0:32 offset1:152
	s_waitcnt lgkmcnt(0)
	s_barrier
	buffer_gl0_inv
	s_and_saveexec_b32 s0, vcc_lo
	s_cbranch_execz .LBB0_19
; %bb.18:
	v_lshl_add_u32 v6, v56, 3, 0
	v_mov_b32_e32 v57, v8
	v_add_nc_u32_e32 v7, 0x78, v56
	v_add_co_u32 v25, vcc_lo, s2, v58
	ds_read2_b64 v[0:3], v6 offset1:120
	v_add_nc_u32_e32 v9, 0x400, v6
	v_lshlrev_b64 v[4:5], 3, v[56:57]
	v_lshlrev_b64 v[13:14], 3, v[7:8]
	v_add_nc_u32_e32 v7, 0xf0, v56
	v_add_co_ci_u32_e32 v26, vcc_lo, s3, v59, vcc_lo
	ds_read2_b64 v[9:12], v9 offset0:112 offset1:232
	v_add_co_u32 v4, vcc_lo, v25, v4
	v_lshlrev_b64 v[15:16], 3, v[7:8]
	v_add_nc_u32_e32 v7, 0x168, v56
	v_add_co_ci_u32_e32 v5, vcc_lo, v26, v5, vcc_lo
	v_add_co_u32 v13, vcc_lo, v25, v13
	v_lshlrev_b64 v[17:18], 3, v[7:8]
	v_add_nc_u32_e32 v7, 0x1e0, v56
	v_add_co_ci_u32_e32 v14, vcc_lo, v26, v14, vcc_lo
	s_waitcnt lgkmcnt(1)
	global_store_dwordx2 v[4:5], v[0:1], off
	v_add_co_u32 v0, vcc_lo, v25, v15
	v_add_co_ci_u32_e32 v1, vcc_lo, v26, v16, vcc_lo
	v_add_co_u32 v4, vcc_lo, v25, v17
	v_lshlrev_b64 v[15:16], 3, v[7:8]
	v_add_nc_u32_e32 v7, 0x258, v56
	v_add_co_ci_u32_e32 v5, vcc_lo, v26, v18, vcc_lo
	v_add_nc_u32_e32 v17, 0xc00, v6
	global_store_dwordx2 v[13:14], v[2:3], off
	s_waitcnt lgkmcnt(0)
	global_store_dwordx2 v[0:1], v[9:10], off
	global_store_dwordx2 v[4:5], v[11:12], off
	v_lshlrev_b64 v[4:5], 3, v[7:8]
	v_add_nc_u32_e32 v7, 0x2d0, v56
	v_add_nc_u32_e32 v9, 0x1400, v6
	ds_read2_b64 v[0:3], v17 offset0:96 offset1:216
	v_add_co_u32 v17, vcc_lo, v25, v15
	v_lshlrev_b64 v[13:14], 3, v[7:8]
	v_add_nc_u32_e32 v7, 0x348, v56
	ds_read2_b64 v[9:12], v9 offset0:80 offset1:200
	v_add_co_ci_u32_e32 v18, vcc_lo, v26, v16, vcc_lo
	v_add_co_u32 v4, vcc_lo, v25, v4
	v_lshlrev_b64 v[15:16], 3, v[7:8]
	v_add_co_ci_u32_e32 v5, vcc_lo, v26, v5, vcc_lo
	v_add_co_u32 v19, vcc_lo, v25, v13
	v_add_nc_u32_e32 v13, 0x1c00, v6
	v_add_co_ci_u32_e32 v20, vcc_lo, v26, v14, vcc_lo
	v_add_nc_u32_e32 v7, 0x3c0, v56
	v_add_co_u32 v21, vcc_lo, v25, v15
	v_add_co_ci_u32_e32 v22, vcc_lo, v26, v16, vcc_lo
	ds_read2_b64 v[13:16], v13 offset0:64 offset1:184
	v_lshlrev_b64 v[23:24], 3, v[7:8]
	v_add_nc_u32_e32 v7, 0x438, v56
	s_waitcnt lgkmcnt(2)
	global_store_dwordx2 v[17:18], v[0:1], off
	global_store_dwordx2 v[4:5], v[2:3], off
	s_waitcnt lgkmcnt(1)
	global_store_dwordx2 v[19:20], v[9:10], off
	global_store_dwordx2 v[21:22], v[11:12], off
	v_add_nc_u32_e32 v9, 0x2400, v6
	v_add_nc_u32_e32 v10, 0x2c00, v6
	;; [unrolled: 1-line block ×3, first 2 shown]
	v_lshlrev_b64 v[0:1], 3, v[7:8]
	v_add_co_u32 v2, vcc_lo, v25, v23
	v_add_co_ci_u32_e32 v3, vcc_lo, v26, v24, vcc_lo
	v_add_nc_u32_e32 v7, 0x4b0, v56
	v_add_co_u32 v0, vcc_lo, v25, v0
	v_add_co_ci_u32_e32 v1, vcc_lo, v26, v1, vcc_lo
	v_lshlrev_b64 v[4:5], 3, v[7:8]
	v_add_nc_u32_e32 v7, 0x528, v56
	s_waitcnt lgkmcnt(0)
	global_store_dwordx2 v[2:3], v[13:14], off
	global_store_dwordx2 v[0:1], v[15:16], off
	ds_read2_b64 v[0:3], v9 offset0:48 offset1:168
	ds_read2_b64 v[9:12], v10 offset0:32 offset1:152
	v_lshlrev_b64 v[13:14], 3, v[7:8]
	v_add_nc_u32_e32 v7, 0x5a0, v56
	v_add_co_u32 v4, vcc_lo, v25, v4
	v_add_co_ci_u32_e32 v5, vcc_lo, v26, v5, vcc_lo
	v_lshlrev_b64 v[15:16], 3, v[7:8]
	v_add_co_u32 v13, vcc_lo, v25, v13
	v_add_co_ci_u32_e32 v14, vcc_lo, v26, v14, vcc_lo
	v_add_nc_u32_e32 v7, 0x618, v56
	v_add_co_u32 v15, vcc_lo, v25, v15
	v_add_co_ci_u32_e32 v16, vcc_lo, v26, v16, vcc_lo
	v_lshlrev_b64 v[17:18], 3, v[7:8]
	v_add_nc_u32_e32 v7, 0x690, v56
	s_waitcnt lgkmcnt(1)
	global_store_dwordx2 v[4:5], v[0:1], off
	global_store_dwordx2 v[13:14], v[2:3], off
	s_waitcnt lgkmcnt(0)
	global_store_dwordx2 v[15:16], v[9:10], off
	ds_read2_b64 v[0:3], v19 offset0:16 offset1:136
	v_lshlrev_b64 v[4:5], 3, v[7:8]
	v_add_nc_u32_e32 v7, 0x708, v56
	v_add_co_u32 v9, vcc_lo, v25, v17
	v_add_co_ci_u32_e32 v10, vcc_lo, v26, v18, vcc_lo
	v_lshlrev_b64 v[13:14], 3, v[7:8]
	v_add_nc_u32_e32 v7, 0x780, v56
	v_add_co_u32 v4, vcc_lo, v25, v4
	v_add_co_ci_u32_e32 v5, vcc_lo, v26, v5, vcc_lo
	v_add_co_u32 v13, vcc_lo, v25, v13
	v_lshlrev_b64 v[15:16], 3, v[7:8]
	v_add_nc_u32_e32 v7, 0x7f8, v56
	v_add_co_ci_u32_e32 v14, vcc_lo, v26, v14, vcc_lo
	global_store_dwordx2 v[9:10], v[11:12], off
	s_waitcnt lgkmcnt(0)
	global_store_dwordx2 v[4:5], v[0:1], off
	global_store_dwordx2 v[13:14], v[2:3], off
	v_lshlrev_b64 v[4:5], 3, v[7:8]
	v_add_nc_u32_e32 v7, 0x870, v56
	v_add_nc_u32_e32 v17, 0x3800, v6
	;; [unrolled: 1-line block ×3, first 2 shown]
	v_lshlrev_b64 v[13:14], 3, v[7:8]
	v_add_nc_u32_e32 v7, 0x8e8, v56
	ds_read2_b64 v[0:3], v17 offset0:128 offset1:248
	v_add_co_u32 v17, vcc_lo, v25, v15
	ds_read2_b64 v[9:12], v9 offset0:112 offset1:232
	v_add_co_ci_u32_e32 v18, vcc_lo, v26, v16, vcc_lo
	v_add_co_u32 v4, vcc_lo, v25, v4
	v_lshlrev_b64 v[15:16], 3, v[7:8]
	v_add_co_ci_u32_e32 v5, vcc_lo, v26, v5, vcc_lo
	v_add_co_u32 v19, vcc_lo, v25, v13
	v_add_nc_u32_e32 v13, 0x4800, v6
	v_add_co_ci_u32_e32 v20, vcc_lo, v26, v14, vcc_lo
	v_add_nc_u32_e32 v7, 0x960, v56
	v_add_co_u32 v21, vcc_lo, v25, v15
	v_add_co_ci_u32_e32 v22, vcc_lo, v26, v16, vcc_lo
	ds_read2_b64 v[13:16], v13 offset0:96 offset1:216
	v_lshlrev_b64 v[23:24], 3, v[7:8]
	v_add_nc_u32_e32 v7, 0x9d8, v56
	s_waitcnt lgkmcnt(2)
	global_store_dwordx2 v[17:18], v[0:1], off
	global_store_dwordx2 v[4:5], v[2:3], off
	s_waitcnt lgkmcnt(1)
	global_store_dwordx2 v[19:20], v[9:10], off
	global_store_dwordx2 v[21:22], v[11:12], off
	v_add_nc_u32_e32 v9, 0x5000, v6
	v_add_nc_u32_e32 v10, 0x5800, v6
	v_lshlrev_b64 v[0:1], 3, v[7:8]
	v_add_co_u32 v2, vcc_lo, v25, v23
	v_add_co_ci_u32_e32 v3, vcc_lo, v26, v24, vcc_lo
	v_add_nc_u32_e32 v7, 0xa50, v56
	v_add_co_u32 v0, vcc_lo, v25, v0
	v_add_co_ci_u32_e32 v1, vcc_lo, v26, v1, vcc_lo
	v_lshlrev_b64 v[4:5], 3, v[7:8]
	v_add_nc_u32_e32 v7, 0xac8, v56
	s_waitcnt lgkmcnt(0)
	global_store_dwordx2 v[2:3], v[13:14], off
	global_store_dwordx2 v[0:1], v[15:16], off
	ds_read2_b64 v[0:3], v9 offset0:80 offset1:200
	ds_read2_b64 v[9:12], v10 offset0:64 offset1:184
	v_lshlrev_b64 v[13:14], 3, v[7:8]
	v_add_nc_u32_e32 v7, 0xb40, v56
	v_add_co_u32 v4, vcc_lo, v25, v4
	v_add_co_ci_u32_e32 v5, vcc_lo, v26, v5, vcc_lo
	v_lshlrev_b64 v[15:16], 3, v[7:8]
	v_add_nc_u32_e32 v7, 0xbb8, v56
	v_add_co_u32 v13, vcc_lo, v25, v13
	v_add_co_ci_u32_e32 v14, vcc_lo, v26, v14, vcc_lo
	v_add_co_u32 v15, vcc_lo, v25, v15
	v_lshlrev_b64 v[17:18], 3, v[7:8]
	v_add_nc_u32_e32 v7, 0xc30, v56
	v_add_co_ci_u32_e32 v16, vcc_lo, v26, v16, vcc_lo
	s_waitcnt lgkmcnt(1)
	global_store_dwordx2 v[4:5], v[0:1], off
	global_store_dwordx2 v[13:14], v[2:3], off
	s_waitcnt lgkmcnt(0)
	global_store_dwordx2 v[15:16], v[9:10], off
	v_add_nc_u32_e32 v0, 0x6000, v6
	v_lshlrev_b64 v[4:5], 3, v[7:8]
	v_add_nc_u32_e32 v7, 0xca8, v56
	v_add_nc_u32_e32 v6, 0x6800, v6
	v_add_co_u32 v9, vcc_lo, v25, v17
	v_add_co_ci_u32_e32 v10, vcc_lo, v26, v18, vcc_lo
	ds_read2_b64 v[0:3], v0 offset0:48 offset1:168
	v_lshlrev_b64 v[17:18], 3, v[7:8]
	v_add_nc_u32_e32 v7, 0xd20, v56
	ds_read2_b64 v[13:16], v6 offset0:32 offset1:152
	v_add_co_u32 v4, vcc_lo, v25, v4
	v_add_co_ci_u32_e32 v5, vcc_lo, v26, v5, vcc_lo
	v_lshlrev_b64 v[19:20], 3, v[7:8]
	v_add_nc_u32_e32 v7, 0xd98, v56
	v_add_co_u32 v17, vcc_lo, v25, v17
	v_add_co_ci_u32_e32 v18, vcc_lo, v26, v18, vcc_lo
	v_lshlrev_b64 v[6:7], 3, v[7:8]
	v_add_co_u32 v19, vcc_lo, v25, v19
	v_add_co_ci_u32_e32 v20, vcc_lo, v26, v20, vcc_lo
	v_add_co_u32 v6, vcc_lo, v25, v6
	v_add_co_ci_u32_e32 v7, vcc_lo, v26, v7, vcc_lo
	global_store_dwordx2 v[9:10], v[11:12], off
	s_waitcnt lgkmcnt(1)
	global_store_dwordx2 v[4:5], v[0:1], off
	global_store_dwordx2 v[17:18], v[2:3], off
	s_waitcnt lgkmcnt(0)
	global_store_dwordx2 v[19:20], v[13:14], off
	global_store_dwordx2 v[6:7], v[15:16], off
.LBB0_19:
	s_endpgm
	.section	.rodata,"a",@progbits
	.p2align	6, 0x0
	.amdhsa_kernel fft_rtc_fwd_len3600_factors_10_10_6_6_wgs_120_tpt_120_halfLds_sp_ip_CI_unitstride_sbrr_C2R_dirReg
		.amdhsa_group_segment_fixed_size 0
		.amdhsa_private_segment_fixed_size 0
		.amdhsa_kernarg_size 88
		.amdhsa_user_sgpr_count 6
		.amdhsa_user_sgpr_private_segment_buffer 1
		.amdhsa_user_sgpr_dispatch_ptr 0
		.amdhsa_user_sgpr_queue_ptr 0
		.amdhsa_user_sgpr_kernarg_segment_ptr 1
		.amdhsa_user_sgpr_dispatch_id 0
		.amdhsa_user_sgpr_flat_scratch_init 0
		.amdhsa_user_sgpr_private_segment_size 0
		.amdhsa_wavefront_size32 1
		.amdhsa_uses_dynamic_stack 0
		.amdhsa_system_sgpr_private_segment_wavefront_offset 0
		.amdhsa_system_sgpr_workgroup_id_x 1
		.amdhsa_system_sgpr_workgroup_id_y 0
		.amdhsa_system_sgpr_workgroup_id_z 0
		.amdhsa_system_sgpr_workgroup_info 0
		.amdhsa_system_vgpr_workitem_id 0
		.amdhsa_next_free_vgpr 161
		.amdhsa_next_free_sgpr 21
		.amdhsa_reserve_vcc 1
		.amdhsa_reserve_flat_scratch 0
		.amdhsa_float_round_mode_32 0
		.amdhsa_float_round_mode_16_64 0
		.amdhsa_float_denorm_mode_32 3
		.amdhsa_float_denorm_mode_16_64 3
		.amdhsa_dx10_clamp 1
		.amdhsa_ieee_mode 1
		.amdhsa_fp16_overflow 0
		.amdhsa_workgroup_processor_mode 1
		.amdhsa_memory_ordered 1
		.amdhsa_forward_progress 0
		.amdhsa_shared_vgpr_count 0
		.amdhsa_exception_fp_ieee_invalid_op 0
		.amdhsa_exception_fp_denorm_src 0
		.amdhsa_exception_fp_ieee_div_zero 0
		.amdhsa_exception_fp_ieee_overflow 0
		.amdhsa_exception_fp_ieee_underflow 0
		.amdhsa_exception_fp_ieee_inexact 0
		.amdhsa_exception_int_div_zero 0
	.end_amdhsa_kernel
	.text
.Lfunc_end0:
	.size	fft_rtc_fwd_len3600_factors_10_10_6_6_wgs_120_tpt_120_halfLds_sp_ip_CI_unitstride_sbrr_C2R_dirReg, .Lfunc_end0-fft_rtc_fwd_len3600_factors_10_10_6_6_wgs_120_tpt_120_halfLds_sp_ip_CI_unitstride_sbrr_C2R_dirReg
                                        ; -- End function
	.section	.AMDGPU.csdata,"",@progbits
; Kernel info:
; codeLenInByte = 17912
; NumSgprs: 23
; NumVgprs: 161
; ScratchSize: 0
; MemoryBound: 0
; FloatMode: 240
; IeeeMode: 1
; LDSByteSize: 0 bytes/workgroup (compile time only)
; SGPRBlocks: 2
; VGPRBlocks: 20
; NumSGPRsForWavesPerEU: 23
; NumVGPRsForWavesPerEU: 161
; Occupancy: 5
; WaveLimiterHint : 1
; COMPUTE_PGM_RSRC2:SCRATCH_EN: 0
; COMPUTE_PGM_RSRC2:USER_SGPR: 6
; COMPUTE_PGM_RSRC2:TRAP_HANDLER: 0
; COMPUTE_PGM_RSRC2:TGID_X_EN: 1
; COMPUTE_PGM_RSRC2:TGID_Y_EN: 0
; COMPUTE_PGM_RSRC2:TGID_Z_EN: 0
; COMPUTE_PGM_RSRC2:TIDIG_COMP_CNT: 0
	.text
	.p2alignl 6, 3214868480
	.fill 48, 4, 3214868480
	.type	__hip_cuid_64d7e2d1f5d27394,@object ; @__hip_cuid_64d7e2d1f5d27394
	.section	.bss,"aw",@nobits
	.globl	__hip_cuid_64d7e2d1f5d27394
__hip_cuid_64d7e2d1f5d27394:
	.byte	0                               ; 0x0
	.size	__hip_cuid_64d7e2d1f5d27394, 1

	.ident	"AMD clang version 19.0.0git (https://github.com/RadeonOpenCompute/llvm-project roc-6.4.0 25133 c7fe45cf4b819c5991fe208aaa96edf142730f1d)"
	.section	".note.GNU-stack","",@progbits
	.addrsig
	.addrsig_sym __hip_cuid_64d7e2d1f5d27394
	.amdgpu_metadata
---
amdhsa.kernels:
  - .args:
      - .actual_access:  read_only
        .address_space:  global
        .offset:         0
        .size:           8
        .value_kind:     global_buffer
      - .offset:         8
        .size:           8
        .value_kind:     by_value
      - .actual_access:  read_only
        .address_space:  global
        .offset:         16
        .size:           8
        .value_kind:     global_buffer
      - .actual_access:  read_only
        .address_space:  global
        .offset:         24
        .size:           8
        .value_kind:     global_buffer
      - .offset:         32
        .size:           8
        .value_kind:     by_value
      - .actual_access:  read_only
        .address_space:  global
        .offset:         40
        .size:           8
        .value_kind:     global_buffer
      - .actual_access:  read_only
        .address_space:  global
        .offset:         48
        .size:           8
        .value_kind:     global_buffer
      - .offset:         56
        .size:           4
        .value_kind:     by_value
      - .actual_access:  read_only
        .address_space:  global
        .offset:         64
        .size:           8
        .value_kind:     global_buffer
      - .actual_access:  read_only
        .address_space:  global
        .offset:         72
        .size:           8
        .value_kind:     global_buffer
      - .address_space:  global
        .offset:         80
        .size:           8
        .value_kind:     global_buffer
    .group_segment_fixed_size: 0
    .kernarg_segment_align: 8
    .kernarg_segment_size: 88
    .language:       OpenCL C
    .language_version:
      - 2
      - 0
    .max_flat_workgroup_size: 120
    .name:           fft_rtc_fwd_len3600_factors_10_10_6_6_wgs_120_tpt_120_halfLds_sp_ip_CI_unitstride_sbrr_C2R_dirReg
    .private_segment_fixed_size: 0
    .sgpr_count:     23
    .sgpr_spill_count: 0
    .symbol:         fft_rtc_fwd_len3600_factors_10_10_6_6_wgs_120_tpt_120_halfLds_sp_ip_CI_unitstride_sbrr_C2R_dirReg.kd
    .uniform_work_group_size: 1
    .uses_dynamic_stack: false
    .vgpr_count:     161
    .vgpr_spill_count: 0
    .wavefront_size: 32
    .workgroup_processor_mode: 1
amdhsa.target:   amdgcn-amd-amdhsa--gfx1030
amdhsa.version:
  - 1
  - 2
...

	.end_amdgpu_metadata
